;; amdgpu-corpus repo=ROCm/rocFFT kind=compiled arch=gfx906 opt=O3
	.text
	.amdgcn_target "amdgcn-amd-amdhsa--gfx906"
	.amdhsa_code_object_version 6
	.protected	fft_rtc_fwd_len182_factors_13_2_7_wgs_52_tpt_13_half_ip_CI_sbrr_dirReg ; -- Begin function fft_rtc_fwd_len182_factors_13_2_7_wgs_52_tpt_13_half_ip_CI_sbrr_dirReg
	.globl	fft_rtc_fwd_len182_factors_13_2_7_wgs_52_tpt_13_half_ip_CI_sbrr_dirReg
	.p2align	8
	.type	fft_rtc_fwd_len182_factors_13_2_7_wgs_52_tpt_13_half_ip_CI_sbrr_dirReg,@function
fft_rtc_fwd_len182_factors_13_2_7_wgs_52_tpt_13_half_ip_CI_sbrr_dirReg: ; @fft_rtc_fwd_len182_factors_13_2_7_wgs_52_tpt_13_half_ip_CI_sbrr_dirReg
; %bb.0:
	s_load_dwordx2 s[14:15], s[4:5], 0x18
	s_load_dwordx4 s[8:11], s[4:5], 0x0
	s_load_dwordx2 s[12:13], s[4:5], 0x50
	v_mul_u32_u24_e32 v1, 0x13b2, v0
	v_lshrrev_b32_e32 v9, 16, v1
	s_waitcnt lgkmcnt(0)
	s_load_dwordx2 s[2:3], s[14:15], 0x0
	v_cmp_lt_u64_e64 s[0:1], s[10:11], 2
	v_mov_b32_e32 v3, 0
	v_mov_b32_e32 v1, 0
	v_lshl_add_u32 v5, s6, 2, v9
	v_mov_b32_e32 v6, v3
	s_and_b64 vcc, exec, s[0:1]
	v_mov_b32_e32 v2, 0
	s_cbranch_vccnz .LBB0_8
; %bb.1:
	s_load_dwordx2 s[0:1], s[4:5], 0x10
	s_add_u32 s6, s14, 8
	s_addc_u32 s7, s15, 0
	v_mov_b32_e32 v1, 0
	v_mov_b32_e32 v2, 0
	s_waitcnt lgkmcnt(0)
	s_add_u32 s16, s0, 8
	s_addc_u32 s17, s1, 0
	s_mov_b64 s[18:19], 1
.LBB0_2:                                ; =>This Inner Loop Header: Depth=1
	s_load_dwordx2 s[20:21], s[16:17], 0x0
                                        ; implicit-def: $vgpr7_vgpr8
	s_waitcnt lgkmcnt(0)
	v_or_b32_e32 v4, s21, v6
	v_cmp_ne_u64_e32 vcc, 0, v[3:4]
	s_and_saveexec_b64 s[0:1], vcc
	s_xor_b64 s[22:23], exec, s[0:1]
	s_cbranch_execz .LBB0_4
; %bb.3:                                ;   in Loop: Header=BB0_2 Depth=1
	v_cvt_f32_u32_e32 v4, s20
	v_cvt_f32_u32_e32 v7, s21
	s_sub_u32 s0, 0, s20
	s_subb_u32 s1, 0, s21
	v_mac_f32_e32 v4, 0x4f800000, v7
	v_rcp_f32_e32 v4, v4
	v_mul_f32_e32 v4, 0x5f7ffffc, v4
	v_mul_f32_e32 v7, 0x2f800000, v4
	v_trunc_f32_e32 v7, v7
	v_mac_f32_e32 v4, 0xcf800000, v7
	v_cvt_u32_f32_e32 v7, v7
	v_cvt_u32_f32_e32 v4, v4
	v_mul_lo_u32 v8, s0, v7
	v_mul_hi_u32 v10, s0, v4
	v_mul_lo_u32 v12, s1, v4
	v_mul_lo_u32 v11, s0, v4
	v_add_u32_e32 v8, v10, v8
	v_add_u32_e32 v8, v8, v12
	v_mul_hi_u32 v10, v4, v11
	v_mul_lo_u32 v12, v4, v8
	v_mul_hi_u32 v14, v4, v8
	v_mul_hi_u32 v13, v7, v11
	v_mul_lo_u32 v11, v7, v11
	v_mul_hi_u32 v15, v7, v8
	v_add_co_u32_e32 v10, vcc, v10, v12
	v_addc_co_u32_e32 v12, vcc, 0, v14, vcc
	v_mul_lo_u32 v8, v7, v8
	v_add_co_u32_e32 v10, vcc, v10, v11
	v_addc_co_u32_e32 v10, vcc, v12, v13, vcc
	v_addc_co_u32_e32 v11, vcc, 0, v15, vcc
	v_add_co_u32_e32 v8, vcc, v10, v8
	v_addc_co_u32_e32 v10, vcc, 0, v11, vcc
	v_add_co_u32_e32 v4, vcc, v4, v8
	v_addc_co_u32_e32 v7, vcc, v7, v10, vcc
	v_mul_lo_u32 v8, s0, v7
	v_mul_hi_u32 v10, s0, v4
	v_mul_lo_u32 v11, s1, v4
	v_mul_lo_u32 v12, s0, v4
	v_add_u32_e32 v8, v10, v8
	v_add_u32_e32 v8, v8, v11
	v_mul_lo_u32 v13, v4, v8
	v_mul_hi_u32 v14, v4, v12
	v_mul_hi_u32 v15, v4, v8
	v_mul_hi_u32 v11, v7, v12
	v_mul_lo_u32 v12, v7, v12
	v_mul_hi_u32 v10, v7, v8
	v_add_co_u32_e32 v13, vcc, v14, v13
	v_addc_co_u32_e32 v14, vcc, 0, v15, vcc
	v_mul_lo_u32 v8, v7, v8
	v_add_co_u32_e32 v12, vcc, v13, v12
	v_addc_co_u32_e32 v11, vcc, v14, v11, vcc
	v_addc_co_u32_e32 v10, vcc, 0, v10, vcc
	v_add_co_u32_e32 v8, vcc, v11, v8
	v_addc_co_u32_e32 v10, vcc, 0, v10, vcc
	v_add_co_u32_e32 v4, vcc, v4, v8
	v_addc_co_u32_e32 v10, vcc, v7, v10, vcc
	v_mad_u64_u32 v[7:8], s[0:1], v5, v10, 0
	v_mul_hi_u32 v11, v5, v4
	v_add_co_u32_e32 v12, vcc, v11, v7
	v_addc_co_u32_e32 v13, vcc, 0, v8, vcc
	v_mad_u64_u32 v[7:8], s[0:1], v6, v4, 0
	v_mad_u64_u32 v[10:11], s[0:1], v6, v10, 0
	v_add_co_u32_e32 v4, vcc, v12, v7
	v_addc_co_u32_e32 v4, vcc, v13, v8, vcc
	v_addc_co_u32_e32 v7, vcc, 0, v11, vcc
	v_add_co_u32_e32 v4, vcc, v4, v10
	v_addc_co_u32_e32 v10, vcc, 0, v7, vcc
	v_mul_lo_u32 v11, s21, v4
	v_mul_lo_u32 v12, s20, v10
	v_mad_u64_u32 v[7:8], s[0:1], s20, v4, 0
	v_add3_u32 v8, v8, v12, v11
	v_sub_u32_e32 v11, v6, v8
	v_mov_b32_e32 v12, s21
	v_sub_co_u32_e32 v7, vcc, v5, v7
	v_subb_co_u32_e64 v11, s[0:1], v11, v12, vcc
	v_subrev_co_u32_e64 v12, s[0:1], s20, v7
	v_subbrev_co_u32_e64 v11, s[0:1], 0, v11, s[0:1]
	v_cmp_le_u32_e64 s[0:1], s21, v11
	v_cndmask_b32_e64 v13, 0, -1, s[0:1]
	v_cmp_le_u32_e64 s[0:1], s20, v12
	v_cndmask_b32_e64 v12, 0, -1, s[0:1]
	v_cmp_eq_u32_e64 s[0:1], s21, v11
	v_cndmask_b32_e64 v11, v13, v12, s[0:1]
	v_add_co_u32_e64 v12, s[0:1], 2, v4
	v_addc_co_u32_e64 v13, s[0:1], 0, v10, s[0:1]
	v_add_co_u32_e64 v14, s[0:1], 1, v4
	v_addc_co_u32_e64 v15, s[0:1], 0, v10, s[0:1]
	v_subb_co_u32_e32 v8, vcc, v6, v8, vcc
	v_cmp_ne_u32_e64 s[0:1], 0, v11
	v_cmp_le_u32_e32 vcc, s21, v8
	v_cndmask_b32_e64 v11, v15, v13, s[0:1]
	v_cndmask_b32_e64 v13, 0, -1, vcc
	v_cmp_le_u32_e32 vcc, s20, v7
	v_cndmask_b32_e64 v7, 0, -1, vcc
	v_cmp_eq_u32_e32 vcc, s21, v8
	v_cndmask_b32_e32 v7, v13, v7, vcc
	v_cmp_ne_u32_e32 vcc, 0, v7
	v_cndmask_b32_e64 v7, v14, v12, s[0:1]
	v_cndmask_b32_e32 v8, v10, v11, vcc
	v_cndmask_b32_e32 v7, v4, v7, vcc
.LBB0_4:                                ;   in Loop: Header=BB0_2 Depth=1
	s_andn2_saveexec_b64 s[0:1], s[22:23]
	s_cbranch_execz .LBB0_6
; %bb.5:                                ;   in Loop: Header=BB0_2 Depth=1
	v_cvt_f32_u32_e32 v4, s20
	s_sub_i32 s22, 0, s20
	v_rcp_iflag_f32_e32 v4, v4
	v_mul_f32_e32 v4, 0x4f7ffffe, v4
	v_cvt_u32_f32_e32 v4, v4
	v_mul_lo_u32 v7, s22, v4
	v_mul_hi_u32 v7, v4, v7
	v_add_u32_e32 v4, v4, v7
	v_mul_hi_u32 v4, v5, v4
	v_mul_lo_u32 v7, v4, s20
	v_add_u32_e32 v8, 1, v4
	v_sub_u32_e32 v7, v5, v7
	v_subrev_u32_e32 v10, s20, v7
	v_cmp_le_u32_e32 vcc, s20, v7
	v_cndmask_b32_e32 v7, v7, v10, vcc
	v_cndmask_b32_e32 v4, v4, v8, vcc
	v_add_u32_e32 v8, 1, v4
	v_cmp_le_u32_e32 vcc, s20, v7
	v_cndmask_b32_e32 v7, v4, v8, vcc
	v_mov_b32_e32 v8, v3
.LBB0_6:                                ;   in Loop: Header=BB0_2 Depth=1
	s_or_b64 exec, exec, s[0:1]
	v_mul_lo_u32 v4, v8, s20
	v_mul_lo_u32 v12, v7, s21
	v_mad_u64_u32 v[10:11], s[0:1], v7, s20, 0
	s_load_dwordx2 s[0:1], s[6:7], 0x0
	s_add_u32 s18, s18, 1
	v_add3_u32 v4, v11, v12, v4
	v_sub_co_u32_e32 v5, vcc, v5, v10
	v_subb_co_u32_e32 v4, vcc, v6, v4, vcc
	s_waitcnt lgkmcnt(0)
	v_mul_lo_u32 v4, s0, v4
	v_mul_lo_u32 v6, s1, v5
	v_mad_u64_u32 v[1:2], s[0:1], s0, v5, v[1:2]
	s_addc_u32 s19, s19, 0
	s_add_u32 s6, s6, 8
	v_add3_u32 v2, v6, v2, v4
	v_mov_b32_e32 v4, s10
	v_mov_b32_e32 v5, s11
	s_addc_u32 s7, s7, 0
	v_cmp_ge_u64_e32 vcc, s[18:19], v[4:5]
	s_add_u32 s16, s16, 8
	s_addc_u32 s17, s17, 0
	s_cbranch_vccnz .LBB0_9
; %bb.7:                                ;   in Loop: Header=BB0_2 Depth=1
	v_mov_b32_e32 v5, v7
	v_mov_b32_e32 v6, v8
	s_branch .LBB0_2
.LBB0_8:
	v_mov_b32_e32 v8, v6
	v_mov_b32_e32 v7, v5
.LBB0_9:
	s_lshl_b64 s[0:1], s[10:11], 3
	s_add_u32 s0, s14, s0
	s_addc_u32 s1, s15, s1
	s_load_dwordx2 s[6:7], s[0:1], 0x0
	s_load_dwordx2 s[10:11], s[4:5], 0x20
                                        ; implicit-def: $vgpr19
                                        ; implicit-def: $vgpr18
                                        ; implicit-def: $vgpr17
                                        ; implicit-def: $vgpr16
                                        ; implicit-def: $vgpr15
                                        ; implicit-def: $vgpr12
                                        ; implicit-def: $vgpr10
                                        ; implicit-def: $vgpr11
                                        ; implicit-def: $vgpr14
                                        ; implicit-def: $vgpr13
                                        ; implicit-def: $vgpr20
                                        ; implicit-def: $vgpr21
                                        ; implicit-def: $vgpr22
                                        ; implicit-def: $vgpr27
                                        ; implicit-def: $vgpr23
                                        ; implicit-def: $vgpr28
                                        ; implicit-def: $vgpr24
                                        ; implicit-def: $vgpr29
                                        ; implicit-def: $vgpr25
                                        ; implicit-def: $vgpr30
                                        ; implicit-def: $vgpr26
                                        ; implicit-def: $vgpr31
	s_waitcnt lgkmcnt(0)
	v_mad_u64_u32 v[3:4], s[0:1], s6, v7, v[1:2]
	s_mov_b32 s0, 0x13b13b14
	v_mul_lo_u32 v5, s6, v8
	v_mul_lo_u32 v6, s7, v7
	v_mul_hi_u32 v1, v0, s0
	v_cmp_gt_u64_e32 vcc, s[10:11], v[7:8]
                                        ; implicit-def: $vgpr8
                                        ; implicit-def: $vgpr7
	v_add3_u32 v4, v6, v4, v5
	v_mul_u32_u24_e32 v1, 13, v1
	v_sub_u32_e32 v2, v0, v1
	v_lshlrev_b64 v[0:1], 2, v[3:4]
	v_mov_b32_e32 v5, 0
                                        ; implicit-def: $vgpr6
	s_and_saveexec_b64 s[4:5], vcc
	s_cbranch_execz .LBB0_13
; %bb.10:
	v_mad_u64_u32 v[5:6], s[0:1], s2, v2, 0
	v_add_u32_e32 v11, 14, v2
	v_mad_u64_u32 v[7:8], s[0:1], s2, v11, 0
	v_mov_b32_e32 v3, v6
	v_mad_u64_u32 v[3:4], s[0:1], s3, v2, v[3:4]
	v_mov_b32_e32 v10, s13
	v_add_u32_e32 v15, 28, v2
	v_mov_b32_e32 v6, v3
	v_add_co_u32_e64 v3, s[0:1], s12, v0
	v_addc_co_u32_e64 v4, s[0:1], v10, v1, s[0:1]
	v_mad_u64_u32 v[10:11], s[0:1], s3, v11, v[8:9]
	v_mad_u64_u32 v[11:12], s[0:1], s2, v15, 0
	v_lshlrev_b64 v[5:6], 2, v[5:6]
	v_mov_b32_e32 v8, v10
	v_add_co_u32_e64 v13, s[0:1], v3, v5
	v_addc_co_u32_e64 v14, s[0:1], v4, v6, s[0:1]
	v_lshlrev_b64 v[5:6], 2, v[7:8]
	v_mov_b32_e32 v7, v12
	v_mad_u64_u32 v[7:8], s[0:1], s3, v15, v[7:8]
	v_add_u32_e32 v8, 42, v2
	v_mad_u64_u32 v[15:16], s[0:1], s2, v8, 0
	v_add_co_u32_e64 v17, s[0:1], v3, v5
	v_mov_b32_e32 v12, v7
	v_mov_b32_e32 v7, v16
	v_addc_co_u32_e64 v18, s[0:1], v4, v6, s[0:1]
	v_mad_u64_u32 v[7:8], s[0:1], s3, v8, v[7:8]
	v_add_u32_e32 v8, 56, v2
	v_lshlrev_b64 v[5:6], 2, v[11:12]
	v_mad_u64_u32 v[10:11], s[0:1], s2, v8, 0
	v_add_co_u32_e64 v27, s[0:1], v3, v5
	v_mov_b32_e32 v16, v7
	v_mov_b32_e32 v7, v11
	v_addc_co_u32_e64 v28, s[0:1], v4, v6, s[0:1]
	v_mad_u64_u32 v[7:8], s[0:1], s3, v8, v[7:8]
	v_add_u32_e32 v8, 0x46, v2
	v_lshlrev_b64 v[5:6], 2, v[15:16]
	;; [unrolled: 8-line block ×4, first 2 shown]
	v_mad_u64_u32 v[15:16], s[0:1], s2, v8, 0
	v_add_co_u32_e64 v33, s[0:1], v3, v5
	v_mov_b32_e32 v11, v7
	v_mov_b32_e32 v7, v16
	v_addc_co_u32_e64 v34, s[0:1], v4, v6, s[0:1]
	v_mad_u64_u32 v[7:8], s[0:1], s3, v8, v[7:8]
	v_or_b32_e32 v8, 0x70, v2
	v_lshlrev_b64 v[5:6], 2, v[10:11]
	v_mad_u64_u32 v[10:11], s[0:1], s2, v8, 0
	v_add_co_u32_e64 v35, s[0:1], v3, v5
	v_mov_b32_e32 v16, v7
	v_mov_b32_e32 v7, v11
	v_addc_co_u32_e64 v36, s[0:1], v4, v6, s[0:1]
	v_mad_u64_u32 v[7:8], s[0:1], s3, v8, v[7:8]
	v_add_u32_e32 v8, 0x7e, v2
	v_lshlrev_b64 v[5:6], 2, v[15:16]
	v_mad_u64_u32 v[15:16], s[0:1], s2, v8, 0
	v_add_co_u32_e64 v37, s[0:1], v3, v5
	v_mov_b32_e32 v11, v7
	v_mov_b32_e32 v7, v16
	v_addc_co_u32_e64 v38, s[0:1], v4, v6, s[0:1]
	v_mad_u64_u32 v[7:8], s[0:1], s3, v8, v[7:8]
	v_add_u32_e32 v8, 0x8c, v2
	;; [unrolled: 8-line block ×3, first 2 shown]
	v_lshlrev_b64 v[5:6], 2, v[15:16]
	v_mad_u64_u32 v[15:16], s[0:1], s2, v8, 0
	v_add_co_u32_e64 v41, s[0:1], v3, v5
	v_mov_b32_e32 v11, v7
	v_mov_b32_e32 v7, v16
	v_addc_co_u32_e64 v42, s[0:1], v4, v6, s[0:1]
	v_mad_u64_u32 v[7:8], s[0:1], s3, v8, v[7:8]
	v_lshlrev_b64 v[5:6], 2, v[10:11]
	v_add_u32_e32 v12, 0xa8, v2
	v_add_co_u32_e64 v10, s[0:1], v3, v5
	v_addc_co_u32_e64 v11, s[0:1], v4, v6, s[0:1]
	v_mov_b32_e32 v16, v7
	v_mad_u64_u32 v[7:8], s[0:1], s2, v12, 0
	v_lshlrev_b64 v[5:6], 2, v[15:16]
                                        ; implicit-def: $vgpr19
	v_add_co_u32_e64 v15, s[0:1], v3, v5
	v_mov_b32_e32 v5, v8
	v_addc_co_u32_e64 v16, s[0:1], v4, v6, s[0:1]
	v_mad_u64_u32 v[5:6], s[0:1], s3, v12, v[5:6]
	global_load_dword v24, v[29:30], off
	global_load_dword v23, v[31:32], off
	;; [unrolled: 1-line block ×8, first 2 shown]
                                        ; implicit-def: $vgpr13
                                        ; implicit-def: $vgpr14
                                        ; implicit-def: $vgpr12
                                        ; implicit-def: $vgpr17
                                        ; implicit-def: $vgpr18
	v_mov_b32_e32 v8, v5
	v_lshlrev_b64 v[7:8], 2, v[7:8]
	v_mov_b32_e32 v5, 0
	v_add_co_u32_e64 v7, s[0:1], v3, v7
	v_addc_co_u32_e64 v8, s[0:1], v4, v8, s[0:1]
	global_load_dword v27, v[39:40], off
	global_load_dword v28, v[41:42], off
	;; [unrolled: 1-line block ×5, first 2 shown]
	v_cmp_eq_u32_e64 s[0:1], 0, v2
                                        ; implicit-def: $vgpr11
                                        ; implicit-def: $vgpr7
                                        ; implicit-def: $vgpr10
                                        ; implicit-def: $vgpr8
                                        ; implicit-def: $vgpr15
                                        ; implicit-def: $vgpr16
	s_and_saveexec_b64 s[6:7], s[0:1]
	s_cbranch_execz .LBB0_12
; %bb.11:
	v_mad_u64_u32 v[32:33], s[0:1], s2, 52, v[3:4]
	v_mov_b32_e32 v5, 0x6c
	v_mad_u64_u32 v[34:35], s[0:1], s2, v5, v[3:4]
	v_mov_b32_e32 v2, v33
	;; [unrolled: 2-line block ×3, first 2 shown]
	v_mad_u64_u32 v[36:37], s[0:1], s2, v2, v[3:4]
	s_mul_i32 s0, s3, 0x6c
	v_add_u32_e32 v35, s0, v35
	s_mul_i32 s0, s3, 0xa4
	v_mov_b32_e32 v2, 0xdc
	v_add_u32_e32 v37, s0, v37
	v_mad_u64_u32 v[38:39], s[0:1], s2, v2, v[3:4]
	v_mov_b32_e32 v2, 0x114
	v_mad_u64_u32 v[40:41], s[0:1], s2, v2, v[3:4]
	s_mul_i32 s0, s3, 0xdc
	v_add_u32_e32 v39, s0, v39
	s_mul_i32 s0, s3, 0x114
	v_mov_b32_e32 v2, 0x14c
	v_add_u32_e32 v41, s0, v41
	v_mad_u64_u32 v[42:43], s[0:1], s2, v2, v[3:4]
	v_mov_b32_e32 v2, 0x184
	;; [unrolled: 8-line block ×5, first 2 shown]
	v_mad_u64_u32 v[2:3], s[0:1], s2, v2, v[3:4]
	s_mul_i32 s0, s3, 0x29c
	v_mov_b32_e32 v33, v7
	v_add_u32_e32 v55, s0, v55
	s_mul_i32 s0, s3, 0x2d4
	v_add_u32_e32 v3, s0, v3
	global_load_dword v5, v[32:33], off
	global_load_dword v14, v[34:35], off
	;; [unrolled: 1-line block ×13, first 2 shown]
	v_mov_b32_e32 v2, 0
.LBB0_12:
	s_or_b64 exec, exec, s[6:7]
.LBB0_13:
	s_or_b64 exec, exec, s[4:5]
	s_waitcnt vmcnt(0)
	v_pk_add_f16 v34, v26, v31
	v_pk_add_f16 v33, v26, v31 neg_lo:[0,1] neg_hi:[0,1]
	s_mov_b32 s22, 0xb770
	v_mul_f16_e32 v37, 0x388b, v34
	v_lshrrev_b32_e32 v38, 16, v33
	s_movk_i32 s7, 0x3a95
	v_pk_mul_f16 v4, v33, s22 op_sel_hi:[1,0]
	s_movk_i32 s10, 0x3b15
	s_movk_i32 s11, 0x388b
	v_fma_f16 v35, v38, s7, v37
	v_lshrrev_b32_e32 v40, 16, v34
	s_mov_b32 s17, 0xba95
	v_mul_f16_e32 v41, 0xba95, v33
	v_pk_add_f16 v44, v25, v30 neg_lo:[0,1] neg_hi:[0,1]
	v_pk_fma_f16 v3, v34, s10, v4 op_sel:[0,0,1] op_sel_hi:[1,0,0] neg_lo:[0,0,1] neg_hi:[0,0,1]
	v_pk_fma_f16 v32, v34, s10, v4 op_sel:[0,0,1] op_sel_hi:[1,0,0]
	s_mov_b32 s6, 0xffff
	v_add_f16_e32 v39, v35, v6
	v_fma_f16 v35, v40, s11, v41
	v_pk_add_f16 v43, v25, v30
	v_pk_mul_f16 v36, v44, s17 op_sel_hi:[1,0]
	v_bfi_b32 v4, s6, v3, v32
	v_add_f16_sdwa v42, v35, v6 dst_sel:DWORD dst_unused:UNUSED_PAD src0_sel:DWORD src1_sel:WORD_1
	v_pk_fma_f16 v35, v43, s11, v36 op_sel:[0,0,1] op_sel_hi:[1,0,0] neg_lo:[0,0,1] neg_hi:[0,0,1]
	v_pk_fma_f16 v36, v43, s11, v36 op_sel:[0,0,1] op_sel_hi:[1,0,0]
	v_pk_add_f16 v4, v4, v6
	v_bfi_b32 v45, s6, v35, v36
	s_movk_i32 s20, 0x3b7b
	v_pk_add_f16 v4, v45, v4
	v_mul_f16_e32 v45, 0xb5ac, v43
	v_lshrrev_b32_e32 v46, 16, v44
	v_fma_f16 v47, v46, s20, v45
	s_mov_b32 s16, 0xb5ac
	v_add_f16_e32 v39, v47, v39
	v_lshrrev_b32_e32 v47, 16, v43
	v_mul_f16_e32 v48, 0xbb7b, v44
	s_mov_b32 s18, 0xbbf1
	v_fma_f16 v49, v47, s16, v48
	v_pk_add_f16 v50, v24, v29 neg_lo:[0,1] neg_hi:[0,1]
	s_movk_i32 s14, 0x2fb7
	v_add_f16_e32 v42, v49, v42
	v_pk_add_f16 v49, v24, v29
	v_pk_mul_f16 v51, v50, s18 op_sel_hi:[1,0]
	v_pk_fma_f16 v52, v49, s14, v51 op_sel:[0,0,1] op_sel_hi:[1,0,0] neg_lo:[0,0,1] neg_hi:[0,0,1]
	v_pk_fma_f16 v51, v49, s14, v51 op_sel:[0,0,1] op_sel_hi:[1,0,0]
	v_bfi_b32 v53, s6, v52, v51
	s_movk_i32 s21, 0x33a8
	v_pk_add_f16 v4, v53, v4
	v_mul_f16_e32 v53, 0xbbc4, v49
	v_lshrrev_b32_e32 v54, 16, v50
	v_fma_f16 v55, v54, s21, v53
	s_mov_b32 s19, 0xbbc4
	v_add_f16_e32 v39, v55, v39
	v_lshrrev_b32_e32 v55, 16, v49
	v_mul_f16_e32 v56, 0xb3a8, v50
	s_mov_b32 s15, 0xbb7b
	v_fma_f16 v57, v55, s19, v56
	v_pk_add_f16 v58, v23, v28 neg_lo:[0,1] neg_hi:[0,1]
	v_add_f16_e32 v42, v57, v42
	v_pk_add_f16 v57, v23, v28
	v_pk_mul_f16 v59, v58, s15 op_sel_hi:[1,0]
	v_pk_fma_f16 v60, v57, s16, v59 op_sel:[0,0,1] op_sel_hi:[1,0,0] neg_lo:[0,0,1] neg_hi:[0,0,1]
	v_pk_fma_f16 v59, v57, s16, v59 op_sel:[0,0,1] op_sel_hi:[1,0,0]
	v_bfi_b32 v61, s6, v60, v59
	v_pk_add_f16 v4, v61, v4
	s_mov_b32 s23, 0xb94e
	v_mul_f16_e32 v61, 0xb9fd, v57
	v_lshrrev_b32_e32 v62, 16, v58
	v_fma_f16 v63, v62, s23, v61
	v_add_f16_e32 v39, v63, v39
	s_mov_b32 s24, 0xb9fd
	v_lshrrev_b32_e32 v63, 16, v57
	v_mul_f16_e32 v64, 0x394e, v58
	v_fma_f16 v65, v63, s24, v64
	v_pk_add_f16 v66, v22, v27 neg_lo:[0,1] neg_hi:[0,1]
	v_add_f16_e32 v42, v65, v42
	v_pk_add_f16 v65, v22, v27
	v_pk_mul_f16 v67, v66, s23 op_sel_hi:[1,0]
	v_pk_fma_f16 v68, v65, s24, v67 op_sel:[0,0,1] op_sel_hi:[1,0,0] neg_lo:[0,0,1] neg_hi:[0,0,1]
	v_pk_fma_f16 v67, v65, s24, v67 op_sel:[0,0,1] op_sel_hi:[1,0,0]
	v_bfi_b32 v69, s6, v68, v67
	v_pk_add_f16 v4, v69, v4
	v_mul_f16_e32 v69, 0x2fb7, v65
	v_lshrrev_b32_e32 v70, 16, v66
	v_pk_add_f16 v26, v6, v26
	v_fma_f16 v71, v70, s18, v69
	v_pk_add_f16 v25, v26, v25
	v_add_f16_e32 v39, v71, v39
	v_lshrrev_b32_e32 v71, 16, v65
	v_mul_f16_e32 v72, 0x3bf1, v66
	v_pk_add_f16 v24, v25, v24
	v_fma_f16 v73, v71, s14, v72
	s_mov_b32 s25, 0xb3a8
	v_pk_add_f16 v74, v20, v21 neg_lo:[0,1] neg_hi:[0,1]
	v_pk_add_f16 v23, v24, v23
	v_add_f16_e32 v42, v73, v42
	v_pk_add_f16 v73, v20, v21
	v_pk_mul_f16 v75, v74, s25 op_sel_hi:[1,0]
	v_pk_add_f16 v22, v23, v22
	v_pk_fma_f16 v76, v73, s19, v75 op_sel:[0,0,1] op_sel_hi:[1,0,0] neg_lo:[0,0,1] neg_hi:[0,0,1]
	v_pk_fma_f16 v75, v73, s19, v75 op_sel:[0,0,1] op_sel_hi:[1,0,0]
	v_pk_add_f16 v20, v22, v20
	v_bfi_b32 v77, s6, v76, v75
	v_mul_f16_e32 v78, 0x3b15, v73
	v_lshrrev_b32_e32 v79, 16, v74
	v_pk_add_f16 v20, v20, v21
	v_pk_add_f16 v77, v77, v4
	v_fma_f16 v4, v79, s22, v78
	v_pk_add_f16 v20, v20, v27
	v_add_f16_e32 v4, v4, v39
	v_lshrrev_b32_e32 v39, 16, v73
	v_mul_f16_e32 v80, 0x3770, v74
	v_pk_add_f16 v20, v20, v28
	v_fma_f16 v81, v39, s10, v80
	v_pk_add_f16 v20, v20, v29
	v_add_f16_e32 v42, v81, v42
	v_pk_add_f16 v20, v20, v30
	s_movk_i32 s26, 0x3bf1
	v_mul_f16_e32 v22, 0x2fb7, v34
	v_mul_f16_e32 v24, 0xb5ac, v34
	s_movk_i32 s27, 0x394e
	v_mul_f16_e32 v26, 0xb9fd, v34
	v_pack_b32_f16 v42, v4, v42
	v_and_b32_e32 v4, 3, v9
	v_pk_add_f16 v20, v20, v31
	v_fma_f16 v21, v38, s17, v37
	v_fma_f16 v23, v38, s26, v22
	;; [unrolled: 1-line block ×7, first 2 shown]
	v_mul_f16_e32 v29, 0xbbf1, v33
	v_mul_f16_e32 v31, 0xbb7b, v33
	;; [unrolled: 1-line block ×3, first 2 shown]
	v_mul_u32_u24_e32 v9, 0xb6, v4
	v_fma_f16 v28, v40, s11, -v41
	v_fma_f16 v30, v40, s14, v29
	v_fma_f16 v29, v40, s14, -v29
	v_fma_f16 v37, v40, s16, v31
	;; [unrolled: 2-line block ×3, first 2 shown]
	v_fma_f16 v38, v40, s24, -v38
	v_add_f16_e32 v21, v21, v6
	v_fma_f16 v40, v46, s15, v45
	v_mul_u32_u24_e32 v81, 52, v2
	v_lshlrev_b32_e32 v4, 2, v9
	v_add_f16_e32 v21, v40, v21
	v_add_f16_sdwa v28, v28, v6 dst_sel:DWORD dst_unused:UNUSED_PAD src0_sel:DWORD src1_sel:WORD_1
	v_fma_f16 v40, v47, s16, -v48
	v_add3_u32 v81, 0, v81, v4
	v_add_f16_e32 v28, v40, v28
	v_mul_f16_e32 v40, 0xbbc4, v43
	ds_write2_b32 v81, v77, v42 offset0:1 offset1:2
	v_add_f16_e32 v23, v23, v6
	v_fma_f16 v42, v46, s21, v40
	v_add_f16_e32 v23, v42, v23
	v_mul_f16_e32 v42, 0xb3a8, v44
	v_add_f16_e32 v22, v22, v6
	v_fma_f16 v40, v46, s25, v40
	v_add_f16_e32 v22, v40, v22
	v_add_f16_sdwa v29, v29, v6 dst_sel:DWORD dst_unused:UNUSED_PAD src0_sel:DWORD src1_sel:WORD_1
	v_fma_f16 v40, v47, s19, -v42
	v_add_f16_e32 v29, v40, v29
	v_mul_f16_e32 v40, 0xb9fd, v43
	v_fma_f16 v45, v47, s19, v42
	v_add_f16_e32 v25, v25, v6
	v_fma_f16 v42, v46, s23, v40
	v_add_f16_e32 v25, v42, v25
	v_mul_f16_e32 v42, 0x394e, v44
	v_add_f16_e32 v24, v24, v6
	v_fma_f16 v40, v46, s27, v40
	v_add_f16_e32 v24, v40, v24
	v_add_f16_sdwa v31, v31, v6 dst_sel:DWORD dst_unused:UNUSED_PAD src0_sel:DWORD src1_sel:WORD_1
	v_fma_f16 v40, v47, s24, -v42
	v_add_f16_sdwa v30, v30, v6 dst_sel:DWORD dst_unused:UNUSED_PAD src0_sel:DWORD src1_sel:WORD_1
	v_add_f16_e32 v31, v40, v31
	v_mul_f16_e32 v40, 0x2fb7, v43
	v_add_f16_e32 v30, v45, v30
	v_fma_f16 v45, v47, s24, v42
	v_add_f16_e32 v27, v27, v6
	v_fma_f16 v42, v46, s18, v40
	v_add_f16_e32 v27, v42, v27
	v_mul_f16_e32 v42, 0x3bf1, v44
	v_fma_f16 v40, v46, s26, v40
	v_add_f16_e32 v26, v26, v6
	v_add_f16_e32 v26, v40, v26
	v_fma_f16 v40, v47, s14, -v42
	v_add_f16_sdwa v38, v38, v6 dst_sel:DWORD dst_unused:UNUSED_PAD src0_sel:DWORD src1_sel:WORD_1
	v_add_f16_e32 v38, v40, v38
	v_fma_f16 v40, v54, s25, v53
	v_add_f16_e32 v21, v40, v21
	v_fma_f16 v40, v55, s19, -v56
	v_add_f16_sdwa v37, v37, v6 dst_sel:DWORD dst_unused:UNUSED_PAD src0_sel:DWORD src1_sel:WORD_1
	v_add_f16_e32 v28, v40, v28
	v_mul_f16_e32 v40, 0xb5ac, v49
	v_add_f16_e32 v37, v45, v37
	v_fma_f16 v45, v47, s14, v42
	v_fma_f16 v42, v54, s15, v40
	v_add_f16_e32 v23, v42, v23
	v_mul_f16_e32 v42, 0x3b7b, v50
	v_fma_f16 v40, v54, s20, v40
	v_add_f16_e32 v22, v40, v22
	v_fma_f16 v40, v55, s16, -v42
	v_add_f16_sdwa v41, v41, v6 dst_sel:DWORD dst_unused:UNUSED_PAD src0_sel:DWORD src1_sel:WORD_1
	v_add_f16_e32 v29, v40, v29
	v_mul_f16_e32 v40, 0x3b15, v49
	v_add_f16_e32 v41, v45, v41
	v_fma_f16 v45, v55, s16, v42
	v_fma_f16 v42, v54, s22, v40
	s_movk_i32 s28, 0x3770
	v_add_f16_e32 v25, v42, v25
	v_mul_f16_e32 v42, 0x3770, v50
	v_fma_f16 v40, v54, s28, v40
	v_add_f16_e32 v24, v40, v24
	v_fma_f16 v40, v55, s10, -v42
	v_add_f16_e32 v31, v40, v31
	v_mul_f16_e32 v40, 0x388b, v49
	v_add_f16_e32 v30, v45, v30
	v_fma_f16 v45, v55, s10, v42
	v_fma_f16 v42, v54, s7, v40
	v_add_f16_e32 v27, v42, v27
	v_mul_f16_e32 v42, 0xba95, v50
	v_fma_f16 v40, v54, s17, v40
	v_add_f16_e32 v26, v40, v26
	v_fma_f16 v40, v55, s11, -v42
	v_add_f16_e32 v38, v40, v38
	v_fma_f16 v40, v62, s27, v61
	v_add_f16_e32 v21, v40, v21
	v_fma_f16 v40, v63, s24, -v64
	v_add_f16_e32 v28, v40, v28
	v_mul_f16_e32 v40, 0x3b15, v57
	v_add_f16_e32 v37, v45, v37
	v_fma_f16 v45, v55, s11, v42
	v_fma_f16 v42, v62, s22, v40
	v_add_f16_e32 v23, v42, v23
	v_mul_f16_e32 v42, 0x3770, v58
	v_fma_f16 v40, v62, s28, v40
	v_add_f16_e32 v22, v40, v22
	v_fma_f16 v40, v63, s10, -v42
	v_add_f16_e32 v29, v40, v29
	v_mul_f16_e32 v40, 0x2fb7, v57
	v_add_f16_e32 v41, v45, v41
	v_fma_f16 v45, v63, s10, v42
	v_fma_f16 v42, v62, s26, v40
	v_add_f16_e32 v25, v42, v25
	v_mul_f16_e32 v42, 0xbbf1, v58
	v_fma_f16 v40, v62, s18, v40
	v_add_f16_e32 v24, v40, v24
	v_fma_f16 v40, v63, s14, -v42
	v_add_f16_e32 v31, v40, v31
	v_mul_f16_e32 v40, 0xbbc4, v57
	v_add_f16_e32 v30, v45, v30
	v_fma_f16 v45, v63, s14, v42
	v_fma_f16 v42, v62, s25, v40
	v_add_f16_e32 v27, v42, v27
	v_mul_f16_e32 v42, 0x33a8, v58
	v_fma_f16 v40, v62, s21, v40
	v_add_f16_e32 v26, v40, v26
	v_fma_f16 v40, v63, s19, -v42
	v_add_f16_e32 v38, v40, v38
	v_fma_f16 v40, v70, s26, v69
	v_add_f16_e32 v21, v40, v21
	v_fma_f16 v40, v71, s14, -v72
	v_add_f16_e32 v28, v40, v28
	v_mul_f16_e32 v40, 0x388b, v65
	v_add_f16_e32 v37, v45, v37
	v_fma_f16 v45, v63, s19, v42
	v_fma_f16 v42, v70, s7, v40
	v_add_f16_e32 v23, v42, v23
	v_mul_f16_e32 v42, 0xba95, v66
	v_fma_f16 v40, v70, s17, v40
	v_add_f16_e32 v22, v40, v22
	v_fma_f16 v40, v71, s11, -v42
	v_add_f16_e32 v29, v40, v29
	v_mul_f16_e32 v40, 0xbbc4, v65
	v_add_f16_e32 v41, v45, v41
	v_fma_f16 v45, v71, s11, v42
	v_fma_f16 v42, v70, s25, v40
	v_add_f16_e32 v25, v42, v25
	v_mul_f16_e32 v42, 0x33a8, v66
	v_fma_f16 v40, v70, s21, v40
	v_add_f16_e32 v24, v40, v24
	v_fma_f16 v40, v71, s19, -v42
	v_add_f16_e32 v31, v40, v31
	v_mul_f16_e32 v40, 0x3b15, v65
	v_add_f16_e32 v30, v45, v30
	v_fma_f16 v45, v71, s19, v42
	v_fma_f16 v42, v70, s22, v40
	v_add_f16_e32 v27, v42, v27
	v_mul_f16_e32 v42, 0x3770, v66
	v_fma_f16 v40, v70, s28, v40
	v_add_f16_e32 v26, v40, v26
	v_fma_f16 v40, v71, s10, -v42
	v_add_f16_e32 v38, v40, v38
	v_fma_f16 v40, v79, s28, v78
	v_add_f16_e32 v21, v40, v21
	v_fma_f16 v40, v39, s10, -v80
	v_add_f16_e32 v28, v40, v28
	v_mul_f16_e32 v40, 0xb9fd, v73
	v_add_f16_e32 v37, v45, v37
	v_fma_f16 v45, v71, s10, v42
	v_fma_f16 v42, v79, s27, v40
	v_add_f16_e32 v23, v42, v23
	v_mul_f16_e32 v42, 0xb94e, v74
	v_fma_f16 v40, v79, s23, v40
	v_add_f16_e32 v22, v40, v22
	v_fma_f16 v40, v39, s24, -v42
	v_add_f16_e32 v29, v40, v29
	v_mul_f16_e32 v40, 0x388b, v73
	v_add_f16_e32 v41, v45, v41
	v_fma_f16 v45, v39, s24, v42
	v_fma_f16 v42, v79, s17, v40
	v_add_f16_e32 v25, v42, v25
	v_mul_f16_e32 v42, 0x3a95, v74
	v_fma_f16 v40, v79, s7, v40
	v_add_f16_e32 v24, v40, v24
	v_fma_f16 v40, v39, s11, -v42
	v_add_f16_e32 v31, v40, v31
	v_mul_f16_e32 v40, 0xb5ac, v73
	v_add_f16_e32 v30, v45, v30
	v_fma_f16 v45, v39, s11, v42
	v_fma_f16 v42, v79, s20, v40
	v_add_f16_e32 v27, v42, v27
	v_mul_f16_e32 v42, 0xbb7b, v74
	v_add_f16_e32 v37, v45, v37
	v_fma_f16 v45, v39, s16, v42
	v_add_f16_e32 v41, v45, v41
	v_pack_b32_f16 v25, v25, v37
	v_pack_b32_f16 v23, v23, v30
	ds_write2_b32 v81, v23, v25 offset0:3 offset1:4
	v_pack_b32_f16 v23, v27, v41
	ds_write2_b32 v81, v20, v23 offset1:5
	v_pk_mul_f16 v20, v34, s19 op_sel_hi:[1,0]
	v_pk_fma_f16 v23, v33, s25, v20 op_sel:[0,0,1] op_sel_hi:[1,0,0] neg_lo:[1,0,0] neg_hi:[1,0,0]
	v_alignbit_b32 v27, s0, v6, 16
	v_alignbit_b32 v25, s0, v23, 16
	v_pk_fma_f16 v20, v33, s25, v20 op_sel:[0,0,1] op_sel_hi:[1,0,0]
	v_pk_add_f16 v23, v23, v27
	v_pk_mul_f16 v27, v43, s10 op_sel_hi:[1,0]
	v_pk_add_f16 v20, v20, v6 op_sel:[0,1] op_sel_hi:[1,0]
	v_pk_fma_f16 v30, v44, s28, v27 op_sel:[0,0,1] op_sel_hi:[1,0,0] neg_lo:[1,0,0] neg_hi:[1,0,0]
	v_pk_fma_f16 v27, v44, s28, v27 op_sel:[0,0,1] op_sel_hi:[1,0,0]
	v_pk_add_f16 v20, v27, v20
	v_pk_mul_f16 v27, v49, s24 op_sel_hi:[1,0]
	v_alignbit_b32 v33, s0, v30, 16
	v_pk_add_f16 v23, v30, v23
	v_pk_fma_f16 v30, v50, s23, v27 op_sel:[0,0,1] op_sel_hi:[1,0,0] neg_lo:[1,0,0] neg_hi:[1,0,0]
	v_pk_fma_f16 v27, v50, s23, v27 op_sel:[0,0,1] op_sel_hi:[1,0,0]
	v_pk_add_f16 v25, v25, v6
	v_pk_add_f16 v20, v27, v20
	v_pk_mul_f16 v27, v57, s11 op_sel_hi:[1,0]
	v_pk_add_f16 v25, v33, v25
	v_alignbit_b32 v33, s0, v30, 16
	v_pk_add_f16 v23, v30, v23
	v_pk_fma_f16 v30, v58, s7, v27 op_sel:[0,0,1] op_sel_hi:[1,0,0] neg_lo:[1,0,0] neg_hi:[1,0,0]
	v_pk_fma_f16 v27, v58, s7, v27 op_sel:[0,0,1] op_sel_hi:[1,0,0]
	v_pk_add_f16 v20, v27, v20
	v_pk_mul_f16 v27, v65, s16 op_sel_hi:[1,0]
	v_pk_add_f16 v25, v33, v25
	v_alignbit_b32 v33, s0, v30, 16
	v_pk_add_f16 v23, v30, v23
	v_pk_fma_f16 v30, v66, s15, v27 op_sel:[0,0,1] op_sel_hi:[1,0,0] neg_lo:[1,0,0] neg_hi:[1,0,0]
	v_pk_fma_f16 v27, v66, s15, v27 op_sel:[0,0,1] op_sel_hi:[1,0,0]
	v_pk_add_f16 v20, v27, v20
	v_pk_mul_f16 v27, v73, s14 op_sel_hi:[1,0]
	v_bfi_b32 v3, s6, v32, v3
	v_pk_add_f16 v25, v33, v25
	v_alignbit_b32 v33, s0, v30, 16
	v_pk_add_f16 v23, v30, v23
	v_pk_fma_f16 v30, v74, s26, v27 op_sel:[0,0,1] op_sel_hi:[1,0,0] neg_lo:[1,0,0] neg_hi:[1,0,0]
	v_pk_add_f16 v3, v3, v6
	v_bfi_b32 v6, s6, v36, v35
	v_pk_add_f16 v25, v33, v25
	v_alignbit_b32 v33, s0, v30, 16
	v_pk_fma_f16 v27, v74, s26, v27 op_sel:[0,0,1] op_sel_hi:[1,0,0]
	v_pk_add_f16 v3, v6, v3
	v_bfi_b32 v6, s6, v51, v52
	v_fma_f16 v40, v79, s15, v40
	v_fma_f16 v39, v39, s16, -v42
	v_pk_add_f16 v25, v33, v25
	v_pk_add_f16 v20, v27, v20
	;; [unrolled: 1-line block ×4, first 2 shown]
	v_bfi_b32 v6, s6, v59, v60
	v_add_f16_e32 v26, v40, v26
	v_add_f16_e32 v38, v39, v38
	v_alignbit_b32 v23, v23, v20, 16
	v_pack_b32_f16 v20, v25, v20
	v_pk_add_f16 v3, v6, v3
	v_bfi_b32 v6, s6, v67, v68
	ds_write2_b32 v81, v20, v23 offset0:6 offset1:7
	v_pack_b32_f16 v20, v24, v31
	v_pack_b32_f16 v23, v26, v38
	v_pk_add_f16 v3, v6, v3
	v_bfi_b32 v6, s6, v75, v76
	ds_write2_b32 v81, v23, v20 offset0:8 offset1:9
	v_pack_b32_f16 v20, v21, v28
	v_pack_b32_f16 v21, v22, v29
	v_pk_add_f16 v3, v6, v3
	v_cmp_eq_u32_e64 s[0:1], 0, v2
	ds_write2_b32 v81, v21, v20 offset0:10 offset1:11
	ds_write_b32 v81, v3 offset:48
	s_and_saveexec_b64 s[4:5], s[0:1]
	s_cbranch_execz .LBB0_15
; %bb.14:
	v_pk_add_f16 v3, v5, v14
	v_pk_add_f16 v3, v3, v13
	v_pk_add_f16 v3, v3, v8
	v_pk_add_f16 v3, v3, v12
	v_pk_add_f16 v3, v3, v10
	v_pk_add_f16 v3, v3, v7
	v_pk_add_f16 v3, v3, v11
	v_pk_add_f16 v3, v15, v3
	v_pk_add_f16 v3, v16, v3
	v_pk_add_f16 v3, v17, v3
	v_pk_add_f16 v3, v18, v3
	v_pk_add_f16 v6, v14, v19 neg_lo:[0,1] neg_hi:[0,1]
	v_pk_add_f16 v14, v14, v19
	v_pk_add_f16 v3, v19, v3
	v_pk_add_f16 v19, v13, v18 neg_lo:[0,1] neg_hi:[0,1]
	v_pk_add_f16 v13, v13, v18
	v_pk_add_f16 v18, v8, v17 neg_lo:[0,1] neg_hi:[0,1]
	;; [unrolled: 2-line block ×5, first 2 shown]
	v_pk_add_f16 v7, v7, v11
	v_mul_f16_e32 v11, 0xb94e, v6
	v_lshrrev_b32_e32 v20, 16, v14
	v_fma_f16 v21, v20, s24, v11
	v_mul_f16_e32 v22, 0x3bf1, v19
	v_lshrrev_b32_e32 v23, 16, v13
	v_add_f16_sdwa v21, v5, v21 dst_sel:DWORD dst_unused:UNUSED_PAD src0_sel:WORD_1 src1_sel:DWORD
	v_fma_f16 v24, v23, s14, v22
	v_add_f16_e32 v21, v21, v24
	v_mul_f16_e32 v24, 0xba95, v18
	v_lshrrev_b32_e32 v25, 16, v8
	v_fma_f16 v26, v25, s11, v24
	v_add_f16_e32 v21, v21, v26
	v_mul_f16_e32 v26, 0x33a8, v17
	v_lshrrev_b32_e32 v27, 16, v12
	;; [unrolled: 4-line block ×5, first 2 shown]
	v_fma_f16 v34, v33, s27, v32
	v_mul_f16_e32 v35, 0x2fb7, v13
	v_lshrrev_b32_e32 v36, 16, v19
	v_add_f16_e32 v34, v5, v34
	v_fma_f16 v37, v36, s18, v35
	v_add_f16_e32 v34, v34, v37
	v_mul_f16_e32 v37, 0x388b, v8
	v_lshrrev_b32_e32 v38, 16, v18
	v_fma_f16 v39, v38, s7, v37
	v_add_f16_e32 v34, v34, v39
	v_mul_f16_e32 v39, 0xbbc4, v12
	v_lshrrev_b32_e32 v40, 16, v17
	;; [unrolled: 4-line block ×4, first 2 shown]
	v_fma_f16 v45, v44, s20, v43
	v_add_f16_e32 v34, v34, v45
	v_mul_f16_e32 v45, 0xbb7b, v6
	v_fma_f16 v46, v20, s16, v45
	v_mul_f16_e32 v47, 0x394e, v19
	v_add_f16_sdwa v46, v5, v46 dst_sel:DWORD dst_unused:UNUSED_PAD src0_sel:WORD_1 src1_sel:DWORD
	v_fma_f16 v48, v23, s24, v47
	v_add_f16_e32 v46, v46, v48
	v_mul_f16_e32 v48, 0x3770, v18
	v_fma_f16 v49, v25, s10, v48
	v_add_f16_e32 v46, v46, v49
	v_mul_f16_e32 v49, 0xbbf1, v17
	v_fma_f16 v50, v27, s14, v49
	v_add_f16_e32 v46, v46, v50
	v_mul_f16_e32 v50, 0x33a8, v16
	v_fma_f16 v51, v29, s19, v50
	v_add_f16_e32 v46, v46, v51
	v_mul_f16_e32 v51, 0x3a95, v15
	v_fma_f16 v52, v31, s11, v51
	v_add_f16_e32 v46, v46, v52
	v_mul_f16_e32 v52, 0xb5ac, v14
	v_fma_f16 v53, v33, s20, v52
	v_mul_f16_e32 v54, 0xb9fd, v13
	v_add_f16_e32 v53, v5, v53
	v_fma_f16 v55, v36, s23, v54
	v_add_f16_e32 v53, v53, v55
	v_mul_f16_e32 v55, 0x3b15, v8
	v_fma_f16 v56, v38, s22, v55
	v_add_f16_e32 v53, v53, v56
	v_mul_f16_e32 v56, 0x2fb7, v12
	;; [unrolled: 3-line block ×5, first 2 shown]
	v_fma_f16 v60, v20, s14, v59
	v_mul_f16_e32 v61, 0xb3a8, v19
	v_add_f16_sdwa v60, v5, v60 dst_sel:DWORD dst_unused:UNUSED_PAD src0_sel:WORD_1 src1_sel:DWORD
	v_fma_f16 v62, v23, s19, v61
	v_add_f16_e32 v60, v60, v62
	v_mul_f16_e32 v62, 0x3b7b, v18
	v_fma_f16 v63, v25, s16, v62
	v_add_f16_e32 v60, v60, v63
	v_mul_f16_e32 v63, 0x3770, v17
	;; [unrolled: 3-line block ×5, first 2 shown]
	v_fma_f16 v67, v33, s26, v66
	v_mul_f16_e32 v68, 0xbbc4, v13
	v_add_f16_e32 v67, v5, v67
	v_fma_f16 v69, v36, s21, v68
	v_add_f16_e32 v67, v67, v69
	v_mul_f16_e32 v69, 0xb5ac, v8
	v_fma_f16 v70, v38, s15, v69
	v_add_f16_e32 v67, v67, v70
	v_mul_f16_e32 v70, 0x3b15, v12
	;; [unrolled: 3-line block ×5, first 2 shown]
	v_fma_f16 v74, v20, s11, v73
	v_mul_f16_e32 v75, 0xbb7b, v19
	v_add_f16_sdwa v74, v5, v74 dst_sel:DWORD dst_unused:UNUSED_PAD src0_sel:WORD_1 src1_sel:DWORD
	v_fma_f16 v76, v23, s16, v75
	v_add_f16_e32 v74, v74, v76
	v_mul_f16_e32 v76, 0xb3a8, v18
	v_fma_f16 v77, v25, s19, v76
	v_add_f16_e32 v74, v74, v77
	v_mul_f16_e32 v77, 0x394e, v17
	;; [unrolled: 3-line block ×4, first 2 shown]
	v_fma_f16 v11, v20, s24, -v11
	v_fma_f16 v80, v31, s10, v79
	v_add_f16_sdwa v11, v5, v11 dst_sel:DWORD dst_unused:UNUSED_PAD src0_sel:WORD_1 src1_sel:DWORD
	v_fma_f16 v22, v23, s14, -v22
	v_add_f16_e32 v74, v74, v80
	v_mul_f16_e32 v80, 0x388b, v14
	v_add_f16_e32 v11, v11, v22
	v_fma_f16 v22, v25, s11, -v24
	v_fma_f16 v81, v33, s7, v80
	v_mul_f16_e32 v82, 0xb5ac, v13
	v_add_f16_e32 v11, v11, v22
	v_fma_f16 v22, v27, s19, -v26
	v_add_f16_e32 v81, v5, v81
	v_fma_f16 v83, v36, s20, v82
	v_add_f16_e32 v11, v11, v22
	v_fma_f16 v22, v29, s10, -v28
	v_add_f16_e32 v81, v81, v83
	v_mul_f16_e32 v83, 0xbbc4, v8
	v_add_f16_e32 v11, v11, v22
	v_fma_f16 v22, v31, s16, -v30
	v_fma_f16 v84, v38, s21, v83
	v_add_f16_e32 v11, v11, v22
	v_fma_f16 v22, v20, s16, -v45
	v_add_f16_e32 v81, v81, v84
	v_mul_f16_e32 v84, 0xb9fd, v12
	v_add_f16_sdwa v22, v5, v22 dst_sel:DWORD dst_unused:UNUSED_PAD src0_sel:WORD_1 src1_sel:DWORD
	v_fma_f16 v24, v23, s24, -v47
	v_fma_f16 v85, v40, s23, v84
	v_add_f16_e32 v22, v22, v24
	v_fma_f16 v24, v25, s10, -v48
	v_add_f16_e32 v81, v81, v85
	v_mul_f16_e32 v85, 0x2fb7, v10
	v_add_f16_e32 v22, v22, v24
	v_fma_f16 v24, v27, s14, -v49
	v_fma_f16 v86, v42, s18, v85
	v_add_f16_e32 v22, v22, v24
	v_fma_f16 v24, v29, s19, -v50
	v_add_f16_e32 v81, v81, v86
	v_mul_f16_e32 v86, 0x3b15, v7
	v_add_f16_e32 v22, v22, v24
	v_fma_f16 v24, v31, s11, -v51
	v_fma_f16 v87, v44, s22, v86
	v_add_f16_e32 v22, v22, v24
	v_fma_f16 v24, v33, s15, v52
	v_add_f16_e32 v81, v81, v87
	v_pk_mul_f16 v87, v6, s22 op_sel_hi:[1,0]
	v_add_f16_e32 v24, v5, v24
	v_fma_f16 v26, v36, s27, v54
	v_pk_fma_f16 v88, v14, s10, v87 op_sel:[0,0,1] op_sel_hi:[1,0,0] neg_lo:[0,0,1] neg_hi:[0,0,1]
	v_pk_fma_f16 v87, v14, s10, v87 op_sel:[0,0,1] op_sel_hi:[1,0,0]
	v_pk_mul_f16 v90, v19, s17 op_sel_hi:[1,0]
	v_add_f16_e32 v24, v24, v26
	v_fma_f16 v26, v38, s28, v55
	v_bfi_b32 v89, s6, v88, v87
	v_pk_fma_f16 v91, v13, s11, v90 op_sel:[0,0,1] op_sel_hi:[1,0,0] neg_lo:[0,0,1] neg_hi:[0,0,1]
	v_pk_fma_f16 v90, v13, s11, v90 op_sel:[0,0,1] op_sel_hi:[1,0,0]
	v_add_f16_e32 v24, v24, v26
	v_fma_f16 v26, v40, s18, v56
	v_pk_add_f16 v89, v5, v89
	v_bfi_b32 v92, s6, v91, v90
	v_add_f16_e32 v24, v24, v26
	v_fma_f16 v26, v42, s21, v57
	v_pk_add_f16 v89, v89, v92
	v_pk_mul_f16 v92, v18, s18 op_sel_hi:[1,0]
	v_add_f16_e32 v24, v24, v26
	v_fma_f16 v26, v44, s7, v58
	v_pk_fma_f16 v93, v8, s14, v92 op_sel:[0,0,1] op_sel_hi:[1,0,0] neg_lo:[0,0,1] neg_hi:[0,0,1]
	v_pk_fma_f16 v92, v8, s14, v92 op_sel:[0,0,1] op_sel_hi:[1,0,0]
	v_add_f16_e32 v24, v24, v26
	v_fma_f16 v26, v20, s14, -v59
	v_bfi_b32 v94, s6, v93, v92
	v_add_f16_sdwa v26, v5, v26 dst_sel:DWORD dst_unused:UNUSED_PAD src0_sel:WORD_1 src1_sel:DWORD
	v_fma_f16 v28, v23, s19, -v61
	v_pk_add_f16 v89, v89, v94
	v_pk_mul_f16 v94, v17, s15 op_sel_hi:[1,0]
	v_add_f16_e32 v26, v26, v28
	v_fma_f16 v28, v25, s16, -v62
	v_pk_fma_f16 v95, v12, s16, v94 op_sel:[0,0,1] op_sel_hi:[1,0,0] neg_lo:[0,0,1] neg_hi:[0,0,1]
	v_pk_fma_f16 v94, v12, s16, v94 op_sel:[0,0,1] op_sel_hi:[1,0,0]
	v_add_f16_e32 v26, v26, v28
	v_fma_f16 v28, v27, s10, -v63
	v_bfi_b32 v96, s6, v95, v94
	v_add_f16_e32 v26, v26, v28
	v_fma_f16 v28, v29, s11, -v64
	v_pk_add_f16 v89, v89, v96
	v_pk_mul_f16 v96, v16, s23 op_sel_hi:[1,0]
	v_add_f16_e32 v26, v26, v28
	v_fma_f16 v28, v31, s24, -v65
	v_pk_fma_f16 v97, v10, s24, v96 op_sel:[0,0,1] op_sel_hi:[1,0,0] neg_lo:[0,0,1] neg_hi:[0,0,1]
	v_pk_fma_f16 v96, v10, s24, v96 op_sel:[0,0,1] op_sel_hi:[1,0,0]
	v_add_f16_e32 v26, v26, v28
	v_fma_f16 v28, v33, s18, v66
	v_bfi_b32 v98, s6, v97, v96
	v_add_f16_e32 v28, v5, v28
	v_fma_f16 v30, v36, s25, v68
	v_pk_add_f16 v89, v89, v98
	v_pk_mul_f16 v98, v15, s25 op_sel_hi:[1,0]
	v_add_f16_e32 v28, v28, v30
	v_fma_f16 v30, v38, s20, v69
	v_pk_fma_f16 v99, v7, s19, v98 op_sel:[0,0,1] op_sel_hi:[1,0,0] neg_lo:[0,0,1] neg_hi:[0,0,1]
	v_pk_fma_f16 v98, v7, s19, v98 op_sel:[0,0,1] op_sel_hi:[1,0,0]
	v_add_f16_e32 v28, v28, v30
	v_fma_f16 v30, v40, s28, v70
	v_bfi_b32 v100, s6, v99, v98
	v_add_f16_e32 v28, v28, v30
	v_lshl_add_u32 v30, v9, 2, 0
	v_fma_f16 v9, v33, s23, v32
	v_fma_f16 v33, v33, s17, v80
	v_pk_add_f16 v89, v89, v100
	v_fma_f16 v32, v36, s26, v35
	v_add_f16_e32 v33, v5, v33
	v_fma_f16 v36, v36, s15, v82
	v_fma_f16 v35, v38, s17, v37
	v_add_f16_e32 v33, v33, v36
	v_fma_f16 v36, v38, s25, v83
	ds_write2_b32 v30, v3, v89 offset0:169 offset1:170
	v_pack_b32_f16 v3, v67, v60
	v_pack_b32_f16 v38, v81, v74
	ds_write2_b32 v30, v38, v3 offset0:171 offset1:172
	v_pack_b32_f16 v3, v34, v21
	v_pack_b32_f16 v21, v53, v46
	ds_write2_b32 v30, v21, v3 offset0:173 offset1:174
	v_pk_mul_f16 v3, v14, s19 op_sel_hi:[1,0]
	v_pk_fma_f16 v14, v6, s25, v3 op_sel:[0,0,1] op_sel_hi:[1,0,0] neg_lo:[1,0,0] neg_hi:[1,0,0]
	v_pk_mul_f16 v13, v13, s10 op_sel_hi:[1,0]
	v_pk_fma_f16 v3, v6, s25, v3 op_sel:[0,0,1] op_sel_hi:[1,0,0]
	v_pk_mul_f16 v8, v8, s24 op_sel_hi:[1,0]
	v_pk_add_f16 v3, v5, v3 op_sel:[1,0] op_sel_hi:[0,1]
	v_pk_fma_f16 v6, v19, s28, v13 op_sel:[0,0,1] op_sel_hi:[1,0,0]
	v_pk_mul_f16 v12, v12, s11 op_sel_hi:[1,0]
	v_pk_add_f16 v3, v3, v6
	v_pk_fma_f16 v6, v18, s23, v8 op_sel:[0,0,1] op_sel_hi:[1,0,0]
	v_pk_mul_f16 v10, v10, s16 op_sel_hi:[1,0]
	v_pk_add_f16 v3, v3, v6
	;; [unrolled: 3-line block ×3, first 2 shown]
	v_pk_fma_f16 v6, v16, s15, v10 op_sel:[0,0,1] op_sel_hi:[1,0,0]
	v_pk_add_f16 v3, v3, v6
	v_pk_fma_f16 v6, v15, s26, v7 op_sel:[0,0,1] op_sel_hi:[1,0,0]
	v_add_f16_e32 v33, v33, v36
	v_fma_f16 v36, v40, s27, v84
	v_pk_fma_f16 v21, v19, s28, v13 op_sel:[0,0,1] op_sel_hi:[1,0,0] neg_lo:[1,0,0] neg_hi:[1,0,0]
	v_pk_add_f16 v6, v3, v6
	v_pack_b32_f16 v3, v9, v14
	v_fma_f16 v37, v40, s21, v39
	v_fma_f16 v39, v42, s28, v41
	;; [unrolled: 1-line block ×4, first 2 shown]
	v_add_f16_e32 v33, v33, v36
	v_fma_f16 v36, v42, s26, v85
	v_pk_fma_f16 v34, v18, s23, v8 op_sel:[0,0,1] op_sel_hi:[1,0,0] neg_lo:[1,0,0] neg_hi:[1,0,0]
	v_pk_fma_f16 v42, v15, s26, v7 op_sel:[0,0,1] op_sel_hi:[1,0,0] neg_lo:[1,0,0] neg_hi:[1,0,0]
	v_pk_add_f16 v3, v5, v3
	v_pack_b32_f16 v7, v32, v21
	v_pk_fma_f16 v38, v17, s7, v12 op_sel:[0,0,1] op_sel_hi:[1,0,0] neg_lo:[1,0,0] neg_hi:[1,0,0]
	v_pk_add_f16 v3, v3, v7
	v_pack_b32_f16 v7, v35, v34
	;; [unrolled: 3-line block ×3, first 2 shown]
	v_pk_add_f16 v3, v3, v7
	v_pack_b32_f16 v7, v39, v40
	v_pk_add_f16 v3, v3, v7
	v_pack_b32_f16 v7, v41, v42
	v_fma_f16 v20, v20, s11, -v73
	v_pk_add_f16 v3, v3, v7
	v_add_f16_e32 v28, v28, v43
	v_fma_f16 v43, v44, s23, v72
	v_fma_f16 v23, v23, s16, -v75
	v_add_f16_e32 v33, v33, v36
	v_fma_f16 v36, v44, s28, v86
	v_alignbit_b32 v7, v3, v3, 16
	v_pack_b32_f16 v3, v87, v20
	v_add_f16_e32 v28, v28, v43
	v_fma_f16 v25, v25, s19, -v76
	v_add_f16_e32 v33, v33, v36
	v_add_f16_sdwa v36, v5, v88 dst_sel:DWORD dst_unused:UNUSED_PAD src0_sel:WORD_1 src1_sel:WORD_1
	v_add_f16_sdwa v43, v5, v14 dst_sel:DWORD dst_unused:UNUSED_PAD src0_sel:DWORD src1_sel:WORD_1
	v_pk_add_f16 v3, v5, v3
	v_pack_b32_f16 v5, v90, v23
	v_fma_f16 v27, v27, s24, -v77
	v_pk_add_f16 v3, v3, v5
	v_pack_b32_f16 v5, v92, v25
	v_fma_f16 v29, v29, s14, -v78
	v_add_f16_sdwa v43, v43, v21 dst_sel:DWORD dst_unused:UNUSED_PAD src0_sel:DWORD src1_sel:WORD_1
	v_pk_add_f16 v3, v3, v5
	v_pack_b32_f16 v5, v94, v27
	v_fma_f16 v31, v31, s10, -v79
	v_add_f16_sdwa v36, v36, v91 dst_sel:DWORD dst_unused:UNUSED_PAD src0_sel:DWORD src1_sel:WORD_1
	v_add_f16_sdwa v43, v43, v34 dst_sel:DWORD dst_unused:UNUSED_PAD src0_sel:DWORD src1_sel:WORD_1
	v_pk_add_f16 v3, v3, v5
	v_pack_b32_f16 v5, v96, v29
	v_add_f16_sdwa v36, v36, v93 dst_sel:DWORD dst_unused:UNUSED_PAD src0_sel:DWORD src1_sel:WORD_1
	v_add_f16_sdwa v43, v43, v38 dst_sel:DWORD dst_unused:UNUSED_PAD src0_sel:DWORD src1_sel:WORD_1
	v_pk_add_f16 v3, v3, v5
	v_pack_b32_f16 v5, v98, v31
	v_add_f16_sdwa v36, v36, v95 dst_sel:DWORD dst_unused:UNUSED_PAD src0_sel:DWORD src1_sel:WORD_1
	v_add_f16_sdwa v43, v43, v40 dst_sel:DWORD dst_unused:UNUSED_PAD src0_sel:DWORD src1_sel:WORD_1
	v_pack_b32_f16 v9, v22, v28
	v_pack_b32_f16 v8, v11, v24
	v_pk_add_f16 v3, v3, v5
	v_add_f16_sdwa v36, v36, v97 dst_sel:DWORD dst_unused:UNUSED_PAD src0_sel:DWORD src1_sel:WORD_1
	v_add_f16_sdwa v43, v43, v42 dst_sel:DWORD dst_unused:UNUSED_PAD src0_sel:DWORD src1_sel:WORD_1
	ds_write_b128 v30, v[6:9] offset:702
	v_alignbit_b32 v6, v3, v3, 16
	v_pack_b32_f16 v5, v26, v33
	v_add_f16_sdwa v36, v36, v99 dst_sel:DWORD dst_unused:UNUSED_PAD src0_sel:DWORD src1_sel:WORD_1
	ds_write_b16 v30, v43 offset:700
	ds_write_b64 v30, v[5:6] offset:718
	ds_write_b16 v30, v36 offset:726
.LBB0_15:
	s_or_b64 exec, exec, s[4:5]
	v_add_u16_e32 v3, 26, v2
	s_movk_i32 s0, 0x4f
	v_mul_lo_u16_sdwa v5, v3, s0 dst_sel:DWORD dst_unused:UNUSED_PAD src0_sel:BYTE_0 src1_sel:DWORD
	v_lshrrev_b16_e32 v5, 10, v5
	v_mul_lo_u16_e32 v5, 13, v5
	v_sub_u16_e32 v3, v3, v5
	v_add_u16_e32 v5, 39, v2
	v_mul_lo_u16_sdwa v6, v5, s0 dst_sel:DWORD dst_unused:UNUSED_PAD src0_sel:BYTE_0 src1_sel:DWORD
	v_lshrrev_b16_e32 v6, 10, v6
	v_mul_lo_u16_e32 v6, 13, v6
	v_sub_u16_e32 v5, v5, v6
	v_add_u16_e32 v6, 52, v2
	v_mul_lo_u16_sdwa v7, v6, s0 dst_sel:DWORD dst_unused:UNUSED_PAD src0_sel:BYTE_0 src1_sel:DWORD
	v_lshrrev_b16_e32 v7, 10, v7
	v_mul_lo_u16_e32 v7, 13, v7
	v_sub_u16_e32 v6, v6, v7
	v_mov_b32_e32 v7, 2
	v_lshlrev_b32_sdwa v17, v7, v6 dst_sel:DWORD dst_unused:UNUSED_PAD src0_sel:DWORD src1_sel:BYTE_0
	v_add_u16_e32 v6, 0x41, v2
	v_mul_lo_u16_sdwa v8, v6, s0 dst_sel:DWORD dst_unused:UNUSED_PAD src0_sel:BYTE_0 src1_sel:DWORD
	v_lshrrev_b16_e32 v8, 10, v8
	v_mul_lo_u16_e32 v8, 13, v8
	v_sub_u16_e32 v6, v6, v8
	v_lshlrev_b32_sdwa v18, v7, v6 dst_sel:DWORD dst_unused:UNUSED_PAD src0_sel:DWORD src1_sel:BYTE_0
	v_add_u16_e32 v6, 0x4e, v2
	v_mul_lo_u16_sdwa v8, v6, s0 dst_sel:DWORD dst_unused:UNUSED_PAD src0_sel:BYTE_0 src1_sel:DWORD
	v_lshrrev_b16_e32 v8, 10, v8
	v_mul_lo_u16_e32 v8, 13, v8
	v_sub_u16_e32 v6, v6, v8
	v_lshlrev_b32_sdwa v23, v7, v3 dst_sel:DWORD dst_unused:UNUSED_PAD src0_sel:DWORD src1_sel:BYTE_0
	v_mov_b32_e32 v3, 0
	v_lshlrev_b32_sdwa v19, v7, v6 dst_sel:DWORD dst_unused:UNUSED_PAD src0_sel:DWORD src1_sel:BYTE_0
	v_lshlrev_b32_sdwa v24, v7, v5 dst_sel:DWORD dst_unused:UNUSED_PAD src0_sel:DWORD src1_sel:BYTE_0
	v_lshlrev_b64 v[5:6], 2, v[2:3]
	s_waitcnt lgkmcnt(0)
	; wave barrier
	s_waitcnt lgkmcnt(0)
	global_load_dword v20, v17, s[8:9]
	global_load_dword v21, v18, s[8:9]
	;; [unrolled: 1-line block ×3, first 2 shown]
	v_mov_b32_e32 v3, s9
	v_add_co_u32_e64 v5, s[0:1], s8, v5
	v_addc_co_u32_e64 v6, s[0:1], v3, v6, s[0:1]
	global_load_dword v25, v24, s[8:9]
	global_load_dword v26, v23, s[8:9]
	global_load_dword v27, v[5:6], off
	v_lshlrev_b32_e32 v5, 2, v2
	v_add_u32_e32 v28, 0, v4
	v_add3_u32 v4, 0, v5, v4
	v_add_u32_e32 v3, v28, v5
	ds_read2_b32 v[5:6], v4 offset0:91 offset1:104
	ds_read2_b32 v[7:8], v4 offset0:13 offset1:26
	;; [unrolled: 1-line block ×5, first 2 shown]
	ds_read_b32 v29, v3
	ds_read_b32 v30, v4 offset:676
	ds_read2_b32 v[15:16], v4 offset0:143 offset1:156
	v_add_u32_e32 v23, v28, v23
	v_add_u32_e32 v24, v28, v24
	;; [unrolled: 1-line block ×5, first 2 shown]
	s_waitcnt lgkmcnt(0)
	; wave barrier
	s_waitcnt vmcnt(5) lgkmcnt(0)
	v_pk_mul_f16 v32, v15, v20 op_sel:[0,1]
	s_waitcnt vmcnt(4)
	v_pk_mul_f16 v31, v16, v21 op_sel:[0,1]
	s_waitcnt vmcnt(3)
	v_pk_mul_f16 v28, v30, v22 op_sel:[0,1]
	v_pk_fma_f16 v35, v30, v22, v28 op_sel:[0,0,1] op_sel_hi:[1,1,0] neg_lo:[0,0,1] neg_hi:[0,0,1]
	v_pk_fma_f16 v22, v30, v22, v28 op_sel:[0,0,1] op_sel_hi:[1,0,0]
	v_pk_fma_f16 v28, v16, v21, v31 op_sel:[0,0,1] op_sel_hi:[1,1,0] neg_lo:[0,0,1] neg_hi:[0,0,1]
	v_pk_fma_f16 v16, v16, v21, v31 op_sel:[0,0,1] op_sel_hi:[1,0,0]
	s_waitcnt vmcnt(2)
	v_pk_mul_f16 v33, v25, v10 op_sel:[0,1]
	v_pk_fma_f16 v21, v15, v20, v32 op_sel:[0,0,1] op_sel_hi:[1,1,0] neg_lo:[0,0,1] neg_hi:[0,0,1]
	v_pk_fma_f16 v15, v15, v20, v32 op_sel:[0,0,1] op_sel_hi:[1,0,0]
	v_pk_fma_f16 v20, v25, v10, v33 op_sel:[0,0,1] op_sel_hi:[1,1,0] neg_lo:[0,0,1] neg_hi:[0,0,1]
	v_pk_fma_f16 v10, v25, v10, v33 op_sel:[0,0,1] op_sel_hi:[1,0,0]
	v_bfi_b32 v22, s6, v35, v22
	v_bfi_b32 v15, s6, v21, v15
	s_waitcnt vmcnt(0)
	v_pk_mul_f16 v21, v27, v5 op_sel:[0,1]
	v_pk_mul_f16 v34, v26, v9 op_sel:[0,1]
	v_bfi_b32 v10, s6, v20, v10
	v_pk_add_f16 v20, v14, v22 neg_lo:[0,1] neg_hi:[0,1]
	v_pk_fma_f16 v22, v27, v5, v21 op_sel:[0,0,1] op_sel_hi:[1,1,0] neg_lo:[0,0,1] neg_hi:[0,0,1]
	v_pk_fma_f16 v5, v27, v5, v21 op_sel:[0,0,1] op_sel_hi:[1,0,0]
	v_pk_fma_f16 v25, v26, v9, v34 op_sel:[0,0,1] op_sel_hi:[1,1,0] neg_lo:[0,0,1] neg_hi:[0,0,1]
	v_pk_fma_f16 v9, v26, v9, v34 op_sel:[0,0,1] op_sel_hi:[1,0,0]
	v_bfi_b32 v5, s6, v22, v5
	v_pk_mul_f16 v22, v27, v6 op_sel:[0,1]
	v_bfi_b32 v9, s6, v25, v9
	v_pk_fma_f16 v25, v27, v6, v22 op_sel:[0,0,1] op_sel_hi:[1,1,0] neg_lo:[0,0,1] neg_hi:[0,0,1]
	v_pk_fma_f16 v6, v27, v6, v22 op_sel:[0,0,1] op_sel_hi:[1,0,0]
	v_bfi_b32 v16, s6, v28, v16
	v_pk_add_f16 v5, v29, v5 neg_lo:[0,1] neg_hi:[0,1]
	v_bfi_b32 v6, s6, v25, v6
	v_pk_add_f16 v16, v13, v16 neg_lo:[0,1] neg_hi:[0,1]
	v_pk_add_f16 v15, v12, v15 neg_lo:[0,1] neg_hi:[0,1]
	v_pk_add_f16 v10, v11, v10 neg_lo:[0,1] neg_hi:[0,1]
	v_pk_add_f16 v9, v8, v9 neg_lo:[0,1] neg_hi:[0,1]
	v_pk_fma_f16 v21, v29, 2.0, v5 op_sel_hi:[1,0,1] neg_lo:[0,0,1] neg_hi:[0,0,1]
	v_pk_add_f16 v6, v7, v6 neg_lo:[0,1] neg_hi:[0,1]
	v_pk_fma_f16 v14, v14, 2.0, v20 op_sel_hi:[1,0,1] neg_lo:[0,0,1] neg_hi:[0,0,1]
	v_pk_fma_f16 v13, v13, 2.0, v16 op_sel_hi:[1,0,1] neg_lo:[0,0,1] neg_hi:[0,0,1]
	;; [unrolled: 1-line block ×6, first 2 shown]
	ds_write2_b32 v4, v21, v5 offset1:13
	ds_write2_b32 v4, v7, v6 offset0:26 offset1:39
	ds_write2_b32 v23, v8, v9 offset0:52 offset1:65
	;; [unrolled: 1-line block ×6, first 2 shown]
	s_waitcnt lgkmcnt(0)
	; wave barrier
	s_waitcnt lgkmcnt(0)
	s_and_saveexec_b64 s[0:1], vcc
	s_cbranch_execz .LBB0_17
; %bb.16:
	v_add_u32_e32 v5, 13, v2
	v_mul_u32_u24_e32 v5, 6, v5
	v_lshlrev_b32_e32 v9, 2, v5
	global_load_dwordx4 v[5:8], v9, s[8:9] offset:52
	global_load_dwordx2 v[13:14], v9, s[8:9] offset:68
	v_mul_u32_u24_e32 v9, 6, v2
	v_lshlrev_b32_e32 v29, 2, v9
	ds_read2_b32 v[15:16], v4 offset0:39 offset1:52
	ds_read2_b32 v[17:18], v4 offset0:117 offset1:130
	;; [unrolled: 1-line block ×6, first 2 shown]
	ds_read_b32 v27, v4 offset:676
	ds_read_b32 v28, v3
	global_load_dwordx4 v[9:12], v29, s[8:9] offset:52
	global_load_dwordx2 v[3:4], v29, s[8:9] offset:68
	s_movk_i32 s4, 0x3a52
	s_mov_b32 s5, 0xbcab
	s_mov_b32 s8, 0xb9e0
	s_movk_i32 s9, 0x39e0
	s_movk_i32 s1, 0x3574
	;; [unrolled: 1-line block ×4, first 2 shown]
	s_mov_b32 s7, 0xb574
	s_waitcnt vmcnt(3)
	v_lshrrev_b32_e32 v29, 16, v5
	v_lshrrev_b32_e32 v30, 16, v6
	s_waitcnt vmcnt(2)
	v_lshrrev_b32_e32 v33, 16, v13
	v_lshrrev_b32_e32 v34, 16, v14
	v_lshrrev_b32_e32 v31, 16, v7
	v_lshrrev_b32_e32 v32, 16, v8
	s_waitcnt lgkmcnt(1)
	v_mul_f16_sdwa v35, v14, v27 dst_sel:DWORD dst_unused:UNUSED_PAD src0_sel:DWORD src1_sel:WORD_1
	v_mul_f16_sdwa v36, v5, v15 dst_sel:DWORD dst_unused:UNUSED_PAD src0_sel:DWORD src1_sel:WORD_1
	;; [unrolled: 1-line block ×12, first 2 shown]
	v_fma_f16 v34, v27, v34, v35
	v_fma_f16 v29, v15, v29, v36
	;; [unrolled: 1-line block ×6, first 2 shown]
	v_fma_f16 v5, v5, v15, -v41
	v_fma_f16 v14, v14, v27, -v42
	;; [unrolled: 1-line block ×6, first 2 shown]
	v_add_f16_e32 v15, v29, v34
	v_add_f16_e32 v17, v32, v31
	;; [unrolled: 1-line block ×3, first 2 shown]
	v_sub_f16_e32 v21, v29, v34
	v_sub_f16_e32 v23, v32, v31
	;; [unrolled: 1-line block ×4, first 2 shown]
	v_add_f16_e32 v5, v5, v14
	v_add_f16_e32 v6, v6, v13
	v_sub_f16_e32 v27, v30, v33
	v_sub_f16_e32 v30, v8, v7
	v_add_f16_e32 v34, v15, v19
	v_add_f16_e32 v7, v8, v7
	v_add_f16_e32 v37, v5, v6
	v_sub_f16_e32 v32, v15, v17
	v_sub_f16_e32 v33, v17, v19
	v_add_f16_e32 v17, v17, v34
	v_sub_f16_e32 v34, v5, v7
	v_sub_f16_e32 v36, v7, v6
	v_add_f16_e32 v7, v7, v37
	v_sub_f16_e32 v8, v21, v23
	v_sub_f16_e32 v13, v29, v30
	;; [unrolled: 1-line block ×3, first 2 shown]
	v_add_f16_e32 v30, v30, v31
	v_add_f16_sdwa v38, v17, v25 dst_sel:DWORD dst_unused:UNUSED_PAD src0_sel:DWORD src1_sel:WORD_1
	v_mul_f16_e32 v39, 0x3a52, v34
	v_mul_f16_e32 v36, 0x2b26, v36
	v_add_f16_e32 v25, v7, v25
	v_sub_f16_e32 v41, v23, v27
	v_add_f16_e32 v23, v23, v27
	v_sub_f16_e32 v5, v6, v5
	v_mul_f16_e32 v35, 0x3a52, v32
	v_mul_f16_e32 v33, 0x2b26, v33
	;; [unrolled: 1-line block ×3, first 2 shown]
	v_add_f16_e32 v30, v29, v30
	v_fma_f16 v34, v34, s4, v36
	v_fma_f16 v7, v7, s5, v25
	v_mul_f16_e32 v41, 0xb846, v41
	v_add_f16_e32 v23, v21, v23
	v_sub_f16_e32 v29, v31, v29
	v_sub_f16_e32 v15, v19, v15
	v_fma_f16 v6, v5, s8, -v39
	v_sub_f16_e32 v21, v27, v21
	v_fma_f16 v5, v5, s9, -v36
	v_fma_f16 v37, v13, s1, v14
	v_fma_f16 v17, v17, s5, v38
	v_add_f16_e32 v34, v34, v7
	v_mul_f16_e32 v31, 0x3b00, v29
	v_fma_f16 v19, v15, s8, -v35
	v_add_f16_e32 v6, v6, v7
	v_mul_f16_e32 v27, 0x3b00, v21
	v_fma_f16 v15, v15, s9, -v33
	v_fma_f16 v14, v29, s6, -v14
	v_add_f16_e32 v5, v5, v7
	v_fma_f16 v7, v21, s6, -v41
	v_fma_f16 v32, v32, s4, v33
	v_fma_f16 v42, v8, s1, v41
	v_fma_f16 v13, v13, s7, -v31
	v_fma_f16 v8, v8, s7, -v27
	v_add_f16_e32 v15, v15, v17
	v_fma_f16 v14, v30, s0, v14
	v_fma_f16 v7, v23, s0, v7
	;; [unrolled: 1-line block ×3, first 2 shown]
	v_add_f16_e32 v32, v32, v17
	v_fma_f16 v13, v30, s0, v13
	v_add_f16_e32 v19, v19, v17
	v_fma_f16 v8, v23, s0, v8
	v_sub_f16_e32 v17, v15, v14
	v_add_f16_e32 v21, v7, v5
	v_add_f16_e32 v14, v14, v15
	v_sub_f16_e32 v15, v5, v7
	s_waitcnt vmcnt(1)
	v_lshrrev_b32_e32 v7, 16, v11
	v_add_f16_e32 v40, v37, v32
	v_fma_f16 v42, v23, s0, v42
	v_add_f16_e32 v31, v13, v19
	v_sub_f16_e32 v27, v6, v8
	v_sub_f16_e32 v13, v19, v13
	v_add_f16_e32 v8, v8, v6
	v_sub_f16_e32 v19, v32, v37
	v_lshrrev_b32_e32 v6, 16, v10
	s_waitcnt vmcnt(0)
	v_lshrrev_b32_e32 v32, 16, v3
	v_mul_f16_sdwa v37, v7, v22 dst_sel:DWORD dst_unused:UNUSED_PAD src0_sel:DWORD src1_sel:WORD_1
	v_sub_f16_e32 v43, v34, v42
	v_add_f16_e32 v23, v42, v34
	v_lshrrev_b32_e32 v5, 16, v9
	v_lshrrev_b32_e32 v33, 16, v4
	v_fma_f16 v37, v11, v22, -v37
	v_mul_f16_sdwa v42, v6, v16 dst_sel:DWORD dst_unused:UNUSED_PAD src0_sel:DWORD src1_sel:WORD_1
	v_mul_f16_sdwa v44, v32, v18 dst_sel:DWORD dst_unused:UNUSED_PAD src0_sel:DWORD src1_sel:WORD_1
	v_mul_f16_sdwa v11, v11, v22 dst_sel:DWORD dst_unused:UNUSED_PAD src0_sel:DWORD src1_sel:WORD_1
	v_lshrrev_b32_e32 v29, 16, v12
	v_mul_f16_sdwa v30, v5, v26 dst_sel:DWORD dst_unused:UNUSED_PAD src0_sel:DWORD src1_sel:WORD_1
	v_mul_f16_sdwa v34, v33, v24 dst_sel:DWORD dst_unused:UNUSED_PAD src0_sel:DWORD src1_sel:WORD_1
	v_fma_f16 v42, v10, v16, -v42
	v_fma_f16 v44, v3, v18, -v44
	v_fma_f16 v7, v7, v22, v11
	v_mul_f16_sdwa v11, v12, v20 dst_sel:DWORD dst_unused:UNUSED_PAD src0_sel:DWORD src1_sel:WORD_1
	v_mul_f16_sdwa v3, v3, v18 dst_sel:DWORD dst_unused:UNUSED_PAD src0_sel:DWORD src1_sel:WORD_1
	;; [unrolled: 1-line block ×3, first 2 shown]
	v_fma_f16 v30, v9, v26, -v30
	v_fma_f16 v34, v4, v24, -v34
	v_mul_f16_sdwa v36, v29, v20 dst_sel:DWORD dst_unused:UNUSED_PAD src0_sel:DWORD src1_sel:WORD_1
	v_mul_f16_sdwa v4, v4, v24 dst_sel:DWORD dst_unused:UNUSED_PAD src0_sel:DWORD src1_sel:WORD_1
	;; [unrolled: 1-line block ×3, first 2 shown]
	v_fma_f16 v11, v29, v20, v11
	v_fma_f16 v3, v32, v18, v3
	;; [unrolled: 1-line block ×3, first 2 shown]
	v_fma_f16 v36, v12, v20, -v36
	v_fma_f16 v4, v24, v33, v4
	v_fma_f16 v5, v5, v26, v9
	v_add_f16_e32 v12, v11, v7
	v_add_f16_e32 v10, v6, v3
	v_add_f16_e32 v9, v5, v4
	v_sub_f16_e32 v16, v12, v10
	v_sub_f16_e32 v20, v9, v12
	v_mul_f16_e32 v16, 0x2b26, v16
	v_sub_f16_e32 v4, v5, v4
	v_sub_f16_e32 v5, v11, v7
	;; [unrolled: 1-line block ×3, first 2 shown]
	v_mul_f16_e32 v22, 0x3a52, v20
	v_fma_f16 v18, v20, s4, v16
	v_add_f16_e32 v20, v9, v10
	v_sub_f16_e32 v7, v4, v5
	v_sub_f16_e32 v6, v5, v3
	v_add_f16_e32 v5, v5, v3
	v_sub_f16_e32 v3, v3, v4
	v_sub_f16_e32 v35, v30, v34
	;; [unrolled: 1-line block ×4, first 2 shown]
	v_add_f16_e32 v12, v12, v20
	v_add_f16_e32 v29, v36, v37
	;; [unrolled: 1-line block ×4, first 2 shown]
	v_mul_f16_e32 v4, 0x3b00, v3
	v_sub_f16_e32 v41, v35, v39
	v_sub_f16_e32 v46, v39, v45
	v_add_f16_e32 v39, v39, v45
	s_waitcnt lgkmcnt(0)
	v_add_f16_sdwa v20, v12, v28 dst_sel:DWORD dst_unused:UNUSED_PAD src0_sel:DWORD src1_sel:WORD_1
	v_add_f16_e32 v26, v30, v34
	v_sub_f16_e32 v34, v29, v33
	v_mul_f16_e32 v6, 0xb846, v6
	v_sub_f16_e32 v9, v10, v9
	v_fma_f16 v4, v7, s7, -v4
	v_mul_f16_e32 v46, 0xb846, v46
	v_add_f16_e32 v39, v35, v39
	v_fma_f16 v12, v12, s5, v20
	v_sub_f16_e32 v30, v26, v29
	v_mul_f16_e32 v34, 0x2b26, v34
	v_fma_f16 v11, v7, s1, v6
	v_sub_f16_e32 v35, v45, v35
	v_fma_f16 v7, v5, s0, v4
	v_fma_f16 v4, v9, s9, -v16
	v_mul_f16_e32 v32, 0x3a52, v30
	v_fma_f16 v30, v30, s4, v34
	v_fma_f16 v10, v9, s8, -v22
	v_add_f16_e32 v9, v4, v12
	v_fma_f16 v4, v35, s6, -v46
	s_mov_b32 s4, 0x4ec4ec4f
	v_add_f16_e32 v18, v18, v12
	v_add_f16_e32 v10, v10, v12
	v_fma_f16 v12, v39, s0, v4
	v_mul_hi_u32 v4, v2, s4
	v_add_f16_e32 v36, v26, v33
	v_mul_f16_e32 v37, 0x3b00, v35
	v_sub_f16_e32 v26, v33, v26
	v_lshrrev_b32_e32 v4, 3, v4
	v_mul_lo_u32 v4, v4, 26
	v_fma_f16 v47, v41, s1, v46
	v_fma_f16 v37, v41, s7, -v37
	v_fma_f16 v32, v26, s8, -v32
	;; [unrolled: 1-line block ×4, first 2 shown]
	v_sub_u32_e32 v34, v2, v4
	v_fma_f16 v47, v39, s0, v47
	v_add_f16_e32 v29, v29, v36
	v_fma_f16 v11, v5, s0, v11
	v_fma_f16 v37, v39, s0, v37
	;; [unrolled: 1-line block ×3, first 2 shown]
	v_mad_u64_u32 v[3:4], s[0:1], s2, v34, 0
	v_add_f16_e32 v28, v29, v28
	v_fma_f16 v29, v29, s5, v28
	v_add_f16_e32 v30, v30, v29
	v_add_f16_e32 v26, v26, v29
	v_sub_f16_e32 v36, v30, v11
	v_add_f16_e32 v32, v32, v29
	v_sub_f16_e32 v16, v9, v12
	v_add_f16_e32 v29, v5, v26
	v_add_f16_e32 v9, v12, v9
	v_sub_f16_e32 v12, v26, v5
	v_mad_u64_u32 v[4:5], s[0:1], s3, v34, v[4:5]
	v_add_f16_e32 v11, v11, v30
	v_add_u32_e32 v30, 26, v34
	v_mad_u64_u32 v[5:6], s[0:1], s2, v30, 0
	v_sub_f16_e32 v33, v32, v7
	v_add_f16_e32 v7, v7, v32
	v_mov_b32_e32 v26, s13
	v_add_co_u32_e32 v32, vcc, s12, v0
	v_addc_co_u32_e32 v26, vcc, v26, v1, vcc
	v_lshlrev_b64 v[0:1], 2, v[3:4]
	v_mov_b32_e32 v3, v6
	v_mad_u64_u32 v[3:4], s[0:1], s3, v30, v[3:4]
	v_add_co_u32_e32 v0, vcc, v32, v0
	v_addc_co_u32_e32 v1, vcc, v26, v1, vcc
	v_pack_b32_f16 v4, v28, v20
	v_mov_b32_e32 v6, v3
	global_store_dword v[0:1], v4, off
	v_lshlrev_b64 v[0:1], 2, v[5:6]
	v_add_u32_e32 v5, 52, v34
	v_mad_u64_u32 v[3:4], s[0:1], s2, v5, 0
	v_add_f16_e32 v24, v47, v18
	v_sub_f16_e32 v18, v18, v47
	v_pack_b32_f16 v11, v11, v18
	v_mad_u64_u32 v[4:5], s[0:1], s3, v5, v[4:5]
	v_add_u32_e32 v18, 0x4e, v34
	v_mad_u64_u32 v[5:6], s[0:1], s2, v18, 0
	v_add_co_u32_e32 v0, vcc, v32, v0
	v_addc_co_u32_e32 v1, vcc, v26, v1, vcc
	global_store_dword v[0:1], v11, off
	v_lshlrev_b64 v[0:1], 2, v[3:4]
	v_mov_b32_e32 v3, v6
	v_mad_u64_u32 v[3:4], s[0:1], s3, v18, v[3:4]
	v_add_f16_e32 v22, v37, v10
	v_sub_f16_e32 v10, v10, v37
	v_add_co_u32_e32 v0, vcc, v32, v0
	v_addc_co_u32_e32 v1, vcc, v26, v1, vcc
	v_pack_b32_f16 v4, v7, v10
	v_mov_b32_e32 v6, v3
	global_store_dword v[0:1], v4, off
	v_lshlrev_b64 v[0:1], 2, v[5:6]
	v_add_u32_e32 v5, 0x68, v34
	v_mad_u64_u32 v[3:4], s[0:1], s2, v5, 0
	v_pack_b32_f16 v7, v12, v9
	v_add_u32_e32 v9, 0x82, v34
	v_mad_u64_u32 v[4:5], s[0:1], s3, v5, v[4:5]
	v_mad_u64_u32 v[5:6], s[0:1], s2, v9, 0
	v_add_co_u32_e32 v0, vcc, v32, v0
	v_addc_co_u32_e32 v1, vcc, v26, v1, vcc
	global_store_dword v[0:1], v7, off
	v_lshlrev_b64 v[0:1], 2, v[3:4]
	v_mov_b32_e32 v3, v6
	v_mad_u64_u32 v[3:4], s[0:1], s3, v9, v[3:4]
	v_add_co_u32_e32 v0, vcc, v32, v0
	v_addc_co_u32_e32 v1, vcc, v26, v1, vcc
	v_pack_b32_f16 v4, v29, v16
	global_store_dword v[0:1], v4, off
	v_mov_b32_e32 v6, v3
	v_add_u32_e32 v4, 13, v2
	v_lshlrev_b64 v[0:1], 2, v[5:6]
	v_mul_hi_u32 v5, v4, s4
	v_add_u32_e32 v6, 0x9c, v34
	v_mad_u64_u32 v[2:3], s[0:1], s2, v6, 0
	v_lshrrev_b32_e32 v5, 3, v5
	v_mul_lo_u32 v7, v5, 26
	s_movk_i32 s0, 0xb6
	v_add_co_u32_e32 v0, vcc, v32, v0
	v_sub_u32_e32 v4, v4, v7
	v_mad_u64_u32 v[4:5], s[0:1], v5, s0, v[4:5]
	v_addc_co_u32_e32 v1, vcc, v26, v1, vcc
	v_mad_u64_u32 v[5:6], s[0:1], s3, v6, v[3:4]
	v_mad_u64_u32 v[6:7], s[0:1], s2, v4, 0
	v_pack_b32_f16 v9, v33, v22
	v_mov_b32_e32 v3, v5
	global_store_dword v[0:1], v9, off
	v_lshlrev_b64 v[0:1], 2, v[2:3]
	v_mov_b32_e32 v2, v7
	v_mad_u64_u32 v[2:3], s[0:1], s3, v4, v[2:3]
	v_add_co_u32_e32 v0, vcc, v32, v0
	v_addc_co_u32_e32 v1, vcc, v26, v1, vcc
	v_pack_b32_f16 v3, v36, v24
	v_add_u32_e32 v5, 26, v4
	global_store_dword v[0:1], v3, off
	v_mov_b32_e32 v7, v2
	v_mad_u64_u32 v[2:3], s[0:1], s2, v5, 0
	v_lshlrev_b64 v[0:1], 2, v[6:7]
	v_add_u32_e32 v10, 52, v4
	v_mad_u64_u32 v[5:6], s[0:1], s3, v5, v[3:4]
	v_mad_u64_u32 v[6:7], s[0:1], s2, v10, 0
	v_add_co_u32_e32 v0, vcc, v32, v0
	v_addc_co_u32_e32 v1, vcc, v26, v1, vcc
	v_pack_b32_f16 v9, v25, v38
	v_mov_b32_e32 v3, v5
	global_store_dword v[0:1], v9, off
	v_lshlrev_b64 v[0:1], 2, v[2:3]
	v_mov_b32_e32 v2, v7
	v_mad_u64_u32 v[2:3], s[0:1], s3, v10, v[2:3]
	v_add_co_u32_e32 v0, vcc, v32, v0
	v_addc_co_u32_e32 v1, vcc, v26, v1, vcc
	v_pack_b32_f16 v3, v23, v19
	v_add_u32_e32 v5, 0x4e, v4
	global_store_dword v[0:1], v3, off
	v_mov_b32_e32 v7, v2
	v_mad_u64_u32 v[2:3], s[0:1], s2, v5, 0
	v_lshlrev_b64 v[0:1], 2, v[6:7]
	v_add_u32_e32 v9, 0x68, v4
	v_mad_u64_u32 v[5:6], s[0:1], s3, v5, v[3:4]
	v_mad_u64_u32 v[6:7], s[0:1], s2, v9, 0
	v_add_co_u32_e32 v0, vcc, v32, v0
	v_addc_co_u32_e32 v1, vcc, v26, v1, vcc
	v_pack_b32_f16 v8, v8, v13
	v_mov_b32_e32 v3, v5
	global_store_dword v[0:1], v8, off
	v_lshlrev_b64 v[0:1], 2, v[2:3]
	v_mov_b32_e32 v2, v7
	v_mad_u64_u32 v[2:3], s[0:1], s3, v9, v[2:3]
	v_add_co_u32_e32 v0, vcc, v32, v0
	v_addc_co_u32_e32 v1, vcc, v26, v1, vcc
	v_pack_b32_f16 v3, v15, v14
	v_add_u32_e32 v5, 0x82, v4
	global_store_dword v[0:1], v3, off
	v_mov_b32_e32 v7, v2
	v_mad_u64_u32 v[2:3], s[0:1], s2, v5, 0
	v_lshlrev_b64 v[0:1], 2, v[6:7]
	v_pack_b32_f16 v8, v21, v17
	v_mad_u64_u32 v[5:6], s[0:1], s3, v5, v[3:4]
	v_add_u32_e32 v4, 0x9c, v4
	v_mad_u64_u32 v[6:7], s[0:1], s2, v4, 0
	v_add_co_u32_e32 v0, vcc, v32, v0
	v_addc_co_u32_e32 v1, vcc, v26, v1, vcc
	v_mov_b32_e32 v3, v5
	global_store_dword v[0:1], v8, off
	v_lshlrev_b64 v[0:1], 2, v[2:3]
	v_mov_b32_e32 v2, v7
	v_mad_u64_u32 v[2:3], s[0:1], s3, v4, v[2:3]
	v_add_co_u32_e32 v0, vcc, v32, v0
	v_addc_co_u32_e32 v1, vcc, v26, v1, vcc
	v_pack_b32_f16 v3, v27, v31
	v_mov_b32_e32 v7, v2
	global_store_dword v[0:1], v3, off
	v_lshlrev_b64 v[0:1], 2, v[6:7]
	v_pack_b32_f16 v2, v43, v40
	v_add_co_u32_e32 v0, vcc, v32, v0
	v_addc_co_u32_e32 v1, vcc, v26, v1, vcc
	global_store_dword v[0:1], v2, off
.LBB0_17:
	s_endpgm
	.section	.rodata,"a",@progbits
	.p2align	6, 0x0
	.amdhsa_kernel fft_rtc_fwd_len182_factors_13_2_7_wgs_52_tpt_13_half_ip_CI_sbrr_dirReg
		.amdhsa_group_segment_fixed_size 0
		.amdhsa_private_segment_fixed_size 0
		.amdhsa_kernarg_size 88
		.amdhsa_user_sgpr_count 6
		.amdhsa_user_sgpr_private_segment_buffer 1
		.amdhsa_user_sgpr_dispatch_ptr 0
		.amdhsa_user_sgpr_queue_ptr 0
		.amdhsa_user_sgpr_kernarg_segment_ptr 1
		.amdhsa_user_sgpr_dispatch_id 0
		.amdhsa_user_sgpr_flat_scratch_init 0
		.amdhsa_user_sgpr_private_segment_size 0
		.amdhsa_uses_dynamic_stack 0
		.amdhsa_system_sgpr_private_segment_wavefront_offset 0
		.amdhsa_system_sgpr_workgroup_id_x 1
		.amdhsa_system_sgpr_workgroup_id_y 0
		.amdhsa_system_sgpr_workgroup_id_z 0
		.amdhsa_system_sgpr_workgroup_info 0
		.amdhsa_system_vgpr_workitem_id 0
		.amdhsa_next_free_vgpr 101
		.amdhsa_next_free_sgpr 29
		.amdhsa_reserve_vcc 1
		.amdhsa_reserve_flat_scratch 0
		.amdhsa_float_round_mode_32 0
		.amdhsa_float_round_mode_16_64 0
		.amdhsa_float_denorm_mode_32 3
		.amdhsa_float_denorm_mode_16_64 3
		.amdhsa_dx10_clamp 1
		.amdhsa_ieee_mode 1
		.amdhsa_fp16_overflow 0
		.amdhsa_exception_fp_ieee_invalid_op 0
		.amdhsa_exception_fp_denorm_src 0
		.amdhsa_exception_fp_ieee_div_zero 0
		.amdhsa_exception_fp_ieee_overflow 0
		.amdhsa_exception_fp_ieee_underflow 0
		.amdhsa_exception_fp_ieee_inexact 0
		.amdhsa_exception_int_div_zero 0
	.end_amdhsa_kernel
	.text
.Lfunc_end0:
	.size	fft_rtc_fwd_len182_factors_13_2_7_wgs_52_tpt_13_half_ip_CI_sbrr_dirReg, .Lfunc_end0-fft_rtc_fwd_len182_factors_13_2_7_wgs_52_tpt_13_half_ip_CI_sbrr_dirReg
                                        ; -- End function
	.section	.AMDGPU.csdata,"",@progbits
; Kernel info:
; codeLenInByte = 11060
; NumSgprs: 33
; NumVgprs: 101
; ScratchSize: 0
; MemoryBound: 0
; FloatMode: 240
; IeeeMode: 1
; LDSByteSize: 0 bytes/workgroup (compile time only)
; SGPRBlocks: 4
; VGPRBlocks: 25
; NumSGPRsForWavesPerEU: 33
; NumVGPRsForWavesPerEU: 101
; Occupancy: 2
; WaveLimiterHint : 1
; COMPUTE_PGM_RSRC2:SCRATCH_EN: 0
; COMPUTE_PGM_RSRC2:USER_SGPR: 6
; COMPUTE_PGM_RSRC2:TRAP_HANDLER: 0
; COMPUTE_PGM_RSRC2:TGID_X_EN: 1
; COMPUTE_PGM_RSRC2:TGID_Y_EN: 0
; COMPUTE_PGM_RSRC2:TGID_Z_EN: 0
; COMPUTE_PGM_RSRC2:TIDIG_COMP_CNT: 0
	.type	__hip_cuid_985758a06a02dbed,@object ; @__hip_cuid_985758a06a02dbed
	.section	.bss,"aw",@nobits
	.globl	__hip_cuid_985758a06a02dbed
__hip_cuid_985758a06a02dbed:
	.byte	0                               ; 0x0
	.size	__hip_cuid_985758a06a02dbed, 1

	.ident	"AMD clang version 19.0.0git (https://github.com/RadeonOpenCompute/llvm-project roc-6.4.0 25133 c7fe45cf4b819c5991fe208aaa96edf142730f1d)"
	.section	".note.GNU-stack","",@progbits
	.addrsig
	.addrsig_sym __hip_cuid_985758a06a02dbed
	.amdgpu_metadata
---
amdhsa.kernels:
  - .args:
      - .actual_access:  read_only
        .address_space:  global
        .offset:         0
        .size:           8
        .value_kind:     global_buffer
      - .offset:         8
        .size:           8
        .value_kind:     by_value
      - .actual_access:  read_only
        .address_space:  global
        .offset:         16
        .size:           8
        .value_kind:     global_buffer
      - .actual_access:  read_only
        .address_space:  global
        .offset:         24
        .size:           8
        .value_kind:     global_buffer
      - .offset:         32
        .size:           8
        .value_kind:     by_value
      - .actual_access:  read_only
        .address_space:  global
        .offset:         40
        .size:           8
        .value_kind:     global_buffer
      - .actual_access:  read_only
        .address_space:  global
        .offset:         48
        .size:           8
        .value_kind:     global_buffer
      - .offset:         56
        .size:           4
        .value_kind:     by_value
      - .actual_access:  read_only
        .address_space:  global
        .offset:         64
        .size:           8
        .value_kind:     global_buffer
      - .actual_access:  read_only
        .address_space:  global
        .offset:         72
        .size:           8
        .value_kind:     global_buffer
      - .address_space:  global
        .offset:         80
        .size:           8
        .value_kind:     global_buffer
    .group_segment_fixed_size: 0
    .kernarg_segment_align: 8
    .kernarg_segment_size: 88
    .language:       OpenCL C
    .language_version:
      - 2
      - 0
    .max_flat_workgroup_size: 52
    .name:           fft_rtc_fwd_len182_factors_13_2_7_wgs_52_tpt_13_half_ip_CI_sbrr_dirReg
    .private_segment_fixed_size: 0
    .sgpr_count:     33
    .sgpr_spill_count: 0
    .symbol:         fft_rtc_fwd_len182_factors_13_2_7_wgs_52_tpt_13_half_ip_CI_sbrr_dirReg.kd
    .uniform_work_group_size: 1
    .uses_dynamic_stack: false
    .vgpr_count:     101
    .vgpr_spill_count: 0
    .wavefront_size: 64
amdhsa.target:   amdgcn-amd-amdhsa--gfx906
amdhsa.version:
  - 1
  - 2
...

	.end_amdgpu_metadata
